;; amdgpu-corpus repo=ROCm/rocFFT kind=compiled arch=gfx1030 opt=O3
	.text
	.amdgcn_target "amdgcn-amd-amdhsa--gfx1030"
	.amdhsa_code_object_version 6
	.protected	bluestein_single_fwd_len1287_dim1_dp_op_CI_CI ; -- Begin function bluestein_single_fwd_len1287_dim1_dp_op_CI_CI
	.globl	bluestein_single_fwd_len1287_dim1_dp_op_CI_CI
	.p2align	8
	.type	bluestein_single_fwd_len1287_dim1_dp_op_CI_CI,@function
bluestein_single_fwd_len1287_dim1_dp_op_CI_CI: ; @bluestein_single_fwd_len1287_dim1_dp_op_CI_CI
; %bb.0:
	s_load_dwordx4 s[8:11], s[4:5], 0x28
	v_mul_u32_u24_e32 v1, 0x231, v0
	s_mov_b64 s[50:51], s[2:3]
	s_mov_b64 s[48:49], s[0:1]
	v_mov_b32_e32 v13, 0
	s_add_u32 s48, s48, s7
	v_lshrrev_b32_e32 v1, 16, v1
	s_addc_u32 s49, s49, 0
	s_mov_b32 s0, exec_lo
	v_add_nc_u32_e32 v12, s6, v1
	s_waitcnt lgkmcnt(0)
	v_cmpx_gt_u64_e64 s[8:9], v[12:13]
	s_cbranch_execz .LBB0_31
; %bb.1:
	s_clause 0x1
	s_load_dwordx4 s[0:3], s[4:5], 0x18
	s_load_dwordx2 s[6:7], s[4:5], 0x0
	v_mul_lo_u16 v1, 0x75, v1
	v_mov_b32_e32 v13, v12
	v_sub_nc_u16 v74, v0, v1
	v_and_b32_e32 v16, 0xffff, v74
	v_lshlrev_b32_e32 v255, 4, v16
	s_waitcnt lgkmcnt(0)
	s_load_dwordx4 s[12:15], s[0:1], 0x0
	s_clause 0x1
	global_load_dwordx4 v[79:82], v255, s[6:7]
	global_load_dwordx4 v[75:78], v255, s[6:7] offset:1872
	v_add_co_u32 v210, s0, s6, v255
	v_add_co_ci_u32_e64 v213, null, s7, 0, s0
	v_add_co_u32 v0, vcc_lo, 0x1800, v210
	v_add_co_ci_u32_e32 v1, vcc_lo, 0, v213, vcc_lo
	v_add_co_u32 v14, vcc_lo, 0x3000, v210
	buffer_store_dword v13, off, s[48:51], 0 offset:12 ; 4-byte Folded Spill
	buffer_store_dword v14, off, s[48:51], 0 offset:16 ; 4-byte Folded Spill
	v_add_co_ci_u32_e32 v15, vcc_lo, 0, v213, vcc_lo
	global_load_dwordx4 v[107:110], v[0:1], off offset:720
	v_add_co_u32 v2, vcc_lo, 0x2000, v210
	v_add_co_ci_u32_e32 v3, vcc_lo, 0, v213, vcc_lo
	v_add_co_u32 v4, vcc_lo, 0x3800, v210
	s_waitcnt lgkmcnt(0)
	v_mad_u64_u32 v[6:7], null, s14, v12, 0
	v_add_co_ci_u32_e32 v5, vcc_lo, 0, v213, vcc_lo
	v_add_co_u32 v8, vcc_lo, 0x800, v210
	v_mad_u64_u32 v[10:11], null, s12, v16, 0
	v_add_co_ci_u32_e32 v9, vcc_lo, 0, v213, vcc_lo
	v_mad_u64_u32 v[12:13], null, s15, v12, v[7:8]
	v_add_co_u32 v34, vcc_lo, 0x2800, v210
	v_add_co_ci_u32_e32 v35, vcc_lo, 0, v213, vcc_lo
	v_add_co_u32 v36, vcc_lo, 0x4000, v210
	v_mad_u64_u32 v[0:1], null, s13, v16, v[11:12]
	v_mov_b32_e32 v7, v12
	v_add_co_ci_u32_e32 v37, vcc_lo, 0, v213, vcc_lo
	s_mul_i32 s1, s13, 0x1ad
	s_mul_hi_u32 s7, s12, 0x1ad
	s_mul_i32 s0, s12, 0x1ad
	v_mov_b32_e32 v11, v0
	v_lshlrev_b64 v[0:1], 4, v[6:7]
	s_mul_hi_u32 s9, s12, 0xfffffd1b
	s_add_i32 s1, s7, s1
	s_mul_i32 s8, s13, 0xfffffd1b
	s_mul_i32 s6, s12, 0xfffffd1b
	s_sub_i32 s7, s9, s12
	v_add_co_u32 v0, vcc_lo, s10, v0
	v_add_co_ci_u32_e32 v1, vcc_lo, s11, v1, vcc_lo
	s_lshl_b64 s[12:13], s[0:1], 4
	s_add_i32 s7, s7, s8
	buffer_store_dword v14, off, s[48:51], 0 offset:4 ; 4-byte Folded Spill
	buffer_store_dword v15, off, s[48:51], 0 offset:8 ; 4-byte Folded Spill
	buffer_store_dword v16, off, s[48:51], 0 ; 4-byte Folded Spill
	s_lshl_b64 s[0:1], s[6:7], 4
	s_clause 0x2
	global_load_dwordx4 v[95:98], v[14:15], off offset:1440
	global_load_dwordx4 v[87:90], v[2:3], off offset:544
	;; [unrolled: 1-line block ×3, first 2 shown]
	v_lshlrev_b64 v[2:3], 4, v[10:11]
	global_load_dwordx4 v[91:94], v[8:9], off offset:1696
	v_add_co_u32 v0, vcc_lo, v0, v2
	v_add_co_ci_u32_e32 v1, vcc_lo, v1, v3, vcc_lo
	v_add_co_u32 v6, vcc_lo, v0, s12
	v_add_co_ci_u32_e32 v7, vcc_lo, s13, v1, vcc_lo
	v_add_co_u32 v10, vcc_lo, v6, s12
	v_add_co_ci_u32_e32 v11, vcc_lo, s13, v7, vcc_lo
	s_clause 0x1
	global_load_dwordx4 v[2:5], v[0:1], off
	global_load_dwordx4 v[6:9], v[6:7], off
	v_add_co_u32 v14, vcc_lo, v10, s0
	v_add_co_ci_u32_e32 v15, vcc_lo, s1, v11, vcc_lo
	v_add_co_u32 v18, vcc_lo, v14, s12
	v_add_co_ci_u32_e32 v19, vcc_lo, s13, v15, vcc_lo
	s_clause 0x1
	global_load_dwordx4 v[10:13], v[10:11], off
	global_load_dwordx4 v[14:17], v[14:15], off
	v_add_co_u32 v0, vcc_lo, v18, s12
	v_add_co_ci_u32_e32 v1, vcc_lo, s13, v19, vcc_lo
	global_load_dwordx4 v[18:21], v[18:19], off
	v_add_co_u32 v26, vcc_lo, v0, s0
	v_add_co_ci_u32_e32 v27, vcc_lo, s1, v1, vcc_lo
	;; [unrolled: 3-line block ×3, first 2 shown]
	v_add_co_u32 v0, vcc_lo, v30, s12
	v_add_co_ci_u32_e32 v1, vcc_lo, s13, v31, vcc_lo
	global_load_dwordx4 v[26:29], v[26:27], off
	global_load_dwordx4 v[30:33], v[30:31], off
	s_clause 0x1
	global_load_dwordx4 v[99:102], v[34:35], off offset:368
	global_load_dwordx4 v[103:106], v[36:37], off offset:1088
	global_load_dwordx4 v[34:37], v[0:1], off
	v_cmp_gt_u16_e32 vcc_lo, 0x4e, v74
	s_waitcnt vmcnt(10)
	v_mul_f64 v[38:39], v[4:5], v[81:82]
	s_waitcnt vmcnt(9)
	v_mul_f64 v[42:43], v[8:9], v[109:110]
	v_mul_f64 v[40:41], v[2:3], v[81:82]
	;; [unrolled: 1-line block ×3, first 2 shown]
	s_waitcnt vmcnt(8)
	v_mul_f64 v[46:47], v[12:13], v[97:98]
	s_waitcnt vmcnt(7)
	v_mul_f64 v[50:51], v[16:17], v[77:78]
	v_mul_f64 v[48:49], v[10:11], v[97:98]
	;; [unrolled: 1-line block ×3, first 2 shown]
	s_waitcnt vmcnt(6)
	v_mul_f64 v[54:55], v[20:21], v[89:90]
	v_mul_f64 v[56:57], v[18:19], v[89:90]
	s_waitcnt vmcnt(5)
	v_mul_f64 v[58:59], v[24:25], v[85:86]
	v_mul_f64 v[60:61], v[22:23], v[85:86]
	v_fma_f64 v[2:3], v[2:3], v[79:80], v[38:39]
	buffer_store_dword v79, off, s[48:51], 0 offset:36 ; 4-byte Folded Spill
	buffer_store_dword v80, off, s[48:51], 0 offset:40 ; 4-byte Folded Spill
	buffer_store_dword v81, off, s[48:51], 0 offset:44 ; 4-byte Folded Spill
	buffer_store_dword v82, off, s[48:51], 0 offset:48 ; 4-byte Folded Spill
	v_fma_f64 v[6:7], v[6:7], v[107:108], v[42:43]
	buffer_store_dword v107, off, s[48:51], 0 offset:148 ; 4-byte Folded Spill
	buffer_store_dword v108, off, s[48:51], 0 offset:152 ; 4-byte Folded Spill
	;; [unrolled: 1-line block ×4, first 2 shown]
	s_waitcnt vmcnt(4)
	v_mul_f64 v[62:63], v[28:29], v[93:94]
	v_mul_f64 v[64:65], v[26:27], v[93:94]
	s_waitcnt vmcnt(2)
	v_mul_f64 v[66:67], v[32:33], v[101:102]
	v_mul_f64 v[68:69], v[30:31], v[101:102]
	s_waitcnt vmcnt(0)
	v_mul_f64 v[70:71], v[36:37], v[105:106]
	v_fma_f64 v[10:11], v[10:11], v[95:96], v[46:47]
	buffer_store_dword v95, off, s[48:51], 0 offset:100 ; 4-byte Folded Spill
	buffer_store_dword v96, off, s[48:51], 0 offset:104 ; 4-byte Folded Spill
	;; [unrolled: 1-line block ×4, first 2 shown]
	v_fma_f64 v[14:15], v[14:15], v[75:76], v[50:51]
	buffer_store_dword v75, off, s[48:51], 0 offset:20 ; 4-byte Folded Spill
	buffer_store_dword v76, off, s[48:51], 0 offset:24 ; 4-byte Folded Spill
	;; [unrolled: 1-line block ×4, first 2 shown]
	v_mul_f64 v[72:73], v[34:35], v[105:106]
	v_fma_f64 v[18:19], v[18:19], v[87:88], v[54:55]
	buffer_store_dword v87, off, s[48:51], 0 offset:68 ; 4-byte Folded Spill
	buffer_store_dword v88, off, s[48:51], 0 offset:72 ; 4-byte Folded Spill
	buffer_store_dword v89, off, s[48:51], 0 offset:76 ; 4-byte Folded Spill
	buffer_store_dword v90, off, s[48:51], 0 offset:80 ; 4-byte Folded Spill
	v_fma_f64 v[22:23], v[22:23], v[83:84], v[58:59]
	buffer_store_dword v83, off, s[48:51], 0 offset:52 ; 4-byte Folded Spill
	buffer_store_dword v84, off, s[48:51], 0 offset:56 ; 4-byte Folded Spill
	buffer_store_dword v85, off, s[48:51], 0 offset:60 ; 4-byte Folded Spill
	buffer_store_dword v86, off, s[48:51], 0 offset:64 ; 4-byte Folded Spill
	v_fma_f64 v[26:27], v[26:27], v[91:92], v[62:63]
	buffer_store_dword v91, off, s[48:51], 0 offset:84 ; 4-byte Folded Spill
	buffer_store_dword v92, off, s[48:51], 0 offset:88 ; 4-byte Folded Spill
	buffer_store_dword v93, off, s[48:51], 0 offset:92 ; 4-byte Folded Spill
	buffer_store_dword v94, off, s[48:51], 0 offset:96 ; 4-byte Folded Spill
	v_fma_f64 v[30:31], v[30:31], v[99:100], v[66:67]
	buffer_store_dword v99, off, s[48:51], 0 offset:116 ; 4-byte Folded Spill
	buffer_store_dword v100, off, s[48:51], 0 offset:120 ; 4-byte Folded Spill
	buffer_store_dword v101, off, s[48:51], 0 offset:124 ; 4-byte Folded Spill
	buffer_store_dword v102, off, s[48:51], 0 offset:128 ; 4-byte Folded Spill
	v_fma_f64 v[34:35], v[34:35], v[103:104], v[70:71]
	buffer_store_dword v103, off, s[48:51], 0 offset:132 ; 4-byte Folded Spill
	buffer_store_dword v104, off, s[48:51], 0 offset:136 ; 4-byte Folded Spill
	buffer_store_dword v105, off, s[48:51], 0 offset:140 ; 4-byte Folded Spill
	buffer_store_dword v106, off, s[48:51], 0 offset:144 ; 4-byte Folded Spill
	s_load_dwordx2 s[6:7], s[4:5], 0x38
	s_load_dwordx4 s[8:11], s[2:3], 0x0
	v_fma_f64 v[4:5], v[4:5], v[79:80], -v[40:41]
	v_fma_f64 v[8:9], v[8:9], v[107:108], -v[44:45]
	;; [unrolled: 1-line block ×5, first 2 shown]
	ds_write_b128 v255, v[2:5]
	ds_write_b128 v255, v[6:9] offset:6864
	ds_write_b128 v255, v[10:13] offset:13728
	;; [unrolled: 1-line block ×4, first 2 shown]
	v_fma_f64 v[24:25], v[24:25], v[83:84], -v[60:61]
	v_fma_f64 v[28:29], v[28:29], v[91:92], -v[64:65]
	;; [unrolled: 1-line block ×4, first 2 shown]
	ds_write_b128 v255, v[22:25] offset:15600
	ds_write_b128 v255, v[26:29] offset:3744
	ds_write_b128 v255, v[30:33] offset:10608
	ds_write_b128 v255, v[34:37] offset:17472
	s_and_saveexec_b32 s2, vcc_lo
	s_cbranch_execz .LBB0_3
; %bb.2:
	v_add_co_u32 v4, s0, v0, s0
	v_add_co_ci_u32_e64 v5, s0, s1, v1, s0
	v_add_co_u32 v6, s0, 0x1000, v210
	v_add_co_ci_u32_e64 v7, s0, 0, v213, s0
	v_add_co_u32 v8, s0, v4, s12
	v_add_co_ci_u32_e64 v9, s0, s13, v5, s0
	v_add_co_u32 v16, s0, 0x4800, v210
	v_add_co_ci_u32_e64 v17, s0, 0, v213, s0
	v_add_co_u32 v20, s0, v8, s12
	global_load_dwordx4 v[0:3], v[4:5], off
	v_add_co_ci_u32_e64 v21, s0, s13, v9, s0
	global_load_dwordx4 v[4:7], v[6:7], off offset:1520
	global_load_dwordx4 v[8:11], v[8:9], off
	s_clause 0x1
	buffer_load_dword v12, off, s[48:51], 0 offset:4
	buffer_load_dword v13, off, s[48:51], 0 offset:8
	s_waitcnt vmcnt(0)
	s_clause 0x1
	global_load_dwordx4 v[12:15], v[12:13], off offset:192
	global_load_dwordx4 v[16:19], v[16:17], off offset:912
	global_load_dwordx4 v[20:23], v[20:21], off
	v_mul_f64 v[24:25], v[2:3], v[6:7]
	v_mul_f64 v[6:7], v[0:1], v[6:7]
	v_fma_f64 v[0:1], v[0:1], v[4:5], v[24:25]
	v_fma_f64 v[2:3], v[2:3], v[4:5], -v[6:7]
	s_waitcnt vmcnt(2)
	v_mul_f64 v[26:27], v[10:11], v[14:15]
	v_mul_f64 v[14:15], v[8:9], v[14:15]
	s_waitcnt vmcnt(0)
	v_mul_f64 v[28:29], v[22:23], v[18:19]
	v_mul_f64 v[18:19], v[20:21], v[18:19]
	v_fma_f64 v[4:5], v[8:9], v[12:13], v[26:27]
	v_fma_f64 v[6:7], v[10:11], v[12:13], -v[14:15]
	v_fma_f64 v[8:9], v[20:21], v[16:17], v[28:29]
	v_fma_f64 v[10:11], v[22:23], v[16:17], -v[18:19]
	ds_write_b128 v255, v[0:3] offset:5616
	ds_write_b128 v255, v[4:7] offset:12480
	;; [unrolled: 1-line block ×3, first 2 shown]
.LBB0_3:
	s_or_b32 exec_lo, exec_lo, s2
	s_waitcnt lgkmcnt(0)
	s_waitcnt_vscnt null, 0x0
	s_barrier
	buffer_gl0_inv
	ds_read_b128 v[68:71], v255
	ds_read_b128 v[56:59], v255 offset:1872
	ds_read_b128 v[44:47], v255 offset:13728
	;; [unrolled: 1-line block ×8, first 2 shown]
                                        ; implicit-def: $vgpr48_vgpr49
                                        ; implicit-def: $vgpr80_vgpr81
                                        ; implicit-def: $vgpr64_vgpr65
	s_and_saveexec_b32 s0, vcc_lo
	s_cbranch_execz .LBB0_5
; %bb.4:
	ds_read_b128 v[48:51], v255 offset:5616
	ds_read_b128 v[80:83], v255 offset:12480
	;; [unrolled: 1-line block ×3, first 2 shown]
.LBB0_5:
	s_or_b32 exec_lo, exec_lo, s0
	buffer_load_dword v120, off, s[48:51], 0 ; 4-byte Folded Reload
	s_waitcnt lgkmcnt(4)
	v_add_f64 v[0:1], v[68:69], v[76:77]
	v_add_f64 v[2:3], v[76:77], v[44:45]
	;; [unrolled: 1-line block ×3, first 2 shown]
	s_waitcnt lgkmcnt(2)
	v_add_f64 v[6:7], v[72:73], v[40:41]
	s_waitcnt lgkmcnt(0)
	v_add_f64 v[10:11], v[60:61], v[36:37]
	v_add_f64 v[14:15], v[62:63], v[38:39]
	;; [unrolled: 1-line block ×4, first 2 shown]
	v_add_f64 v[20:21], v[76:77], -v[44:45]
	v_add_f64 v[22:23], v[56:57], v[72:73]
	v_add_f64 v[24:25], v[74:75], -v[42:43]
	v_add_f64 v[26:27], v[58:59], v[74:75]
	;; [unrolled: 2-line block ×4, first 2 shown]
	s_load_dwordx2 s[2:3], s[4:5], 0x8
	s_mov_b32 s5, 0xbfebb67a
	s_waitcnt vmcnt(0) lgkmcnt(0)
	s_barrier
	buffer_gl0_inv
	v_add_f64 v[84:85], v[0:1], v[44:45]
	v_fma_f64 v[0:1], v[2:3], -0.5, v[68:69]
	v_add_f64 v[2:3], v[70:71], v[78:79]
	v_fma_f64 v[4:5], v[4:5], -0.5, v[70:71]
	v_fma_f64 v[6:7], v[6:7], -0.5, v[56:57]
	;; [unrolled: 1-line block ×4, first 2 shown]
	v_add_f64 v[44:45], v[60:61], -v[36:37]
	v_add_f64 v[52:53], v[48:49], v[80:81]
	v_fma_f64 v[16:17], v[16:17], -0.5, v[48:49]
	v_add_f64 v[48:49], v[82:83], -v[66:67]
	v_add_f64 v[54:55], v[50:51], v[82:83]
	v_fma_f64 v[18:19], v[18:19], -0.5, v[50:51]
	v_add_f64 v[50:51], v[80:81], -v[64:65]
	v_add_f64 v[92:93], v[22:23], v[40:41]
	v_add_f64 v[94:95], v[26:27], v[42:43]
	;; [unrolled: 1-line block ×6, first 2 shown]
	v_add_co_u32 v214, s0, 0x75, v120
	v_add_co_ci_u32_e64 v8, null, 0, 0, s0
	v_add_f64 v[8:9], v[74:75], v[42:43]
	v_add_co_u32 v196, s0, 0xea, v120
	v_add_co_ci_u32_e64 v12, null, 0, 0, s0
	v_add_f64 v[12:13], v[78:79], -v[46:47]
	s_mov_b32 s0, 0xe8584caa
	s_mov_b32 s1, 0x3febb67a
	;; [unrolled: 1-line block ×3, first 2 shown]
	v_fma_f64 v[98:99], v[20:21], s[0:1], v[4:5]
	v_fma_f64 v[90:91], v[20:21], s[4:5], v[4:5]
	;; [unrolled: 1-line block ×8, first 2 shown]
	v_mov_b32_e32 v45, v120
	v_add_f64 v[120:121], v[52:53], v[64:65]
	v_fma_f64 v[124:125], v[48:49], s[0:1], v[16:17]
	v_fma_f64 v[128:129], v[48:49], s[4:5], v[16:17]
	v_fma_f64 v[126:127], v[50:51], s[4:5], v[18:19]
	v_fma_f64 v[8:9], v[8:9], -0.5, v[58:59]
	v_fma_f64 v[130:131], v[50:51], s[0:1], v[18:19]
	v_add_co_u32 v197, null, 0x15f, v45
	v_mul_u32_u24_e32 v2, 3, v214
	v_fma_f64 v[96:97], v[12:13], s[4:5], v[0:1]
	v_fma_f64 v[88:89], v[12:13], s[0:1], v[0:1]
	v_mul_lo_u16 v0, v45, 3
	v_mov_b32_e32 v1, 4
	v_lshlrev_b32_e32 v2, 4, v2
	v_lshlrev_b32_sdwa v1, v1, v0 dst_sel:DWORD dst_unused:UNUSED_PAD src0_sel:DWORD src1_sel:WORD_0
	v_mul_u32_u24_e32 v0, 3, v196
	ds_write_b128 v1, v[84:87]
	ds_write_b128 v1, v[88:91] offset:16
	v_fma_f64 v[102:103], v[28:29], s[4:5], v[8:9]
	v_fma_f64 v[106:107], v[28:29], s[0:1], v[8:9]
	buffer_store_dword v1, off, s[48:51], 0 offset:228 ; 4-byte Folded Spill
	ds_write_b128 v1, v[96:99] offset:32
	v_lshlrev_b32_e32 v0, 4, v0
	v_mul_u32_u24_e32 v1, 3, v197
	ds_write_b128 v2, v[92:95]
	ds_write_b128 v2, v[100:103] offset:16
	buffer_store_dword v1, off, s[48:51], 0 offset:356 ; 4-byte Folded Spill
	buffer_store_dword v2, off, s[48:51], 0 offset:252 ; 4-byte Folded Spill
	ds_write_b128 v2, v[104:107] offset:32
	ds_write_b128 v0, v[108:111]
	ds_write_b128 v0, v[112:115] offset:16
	buffer_store_dword v0, off, s[48:51], 0 offset:204 ; 4-byte Folded Spill
	ds_write_b128 v0, v[116:119] offset:32
	s_and_saveexec_b32 s0, vcc_lo
	s_cbranch_execz .LBB0_7
; %bb.6:
	v_mul_u32_u24_e32 v0, 3, v197
	v_lshlrev_b32_e32 v0, 4, v0
	ds_write_b128 v0, v[120:123]
	ds_write_b128 v0, v[124:127] offset:16
	ds_write_b128 v0, v[128:131] offset:32
.LBB0_7:
	s_or_b32 exec_lo, exec_lo, s0
	v_cmp_gt_u16_e64 s0, 0x63, v45
	s_waitcnt lgkmcnt(0)
	s_waitcnt_vscnt null, 0x0
	s_barrier
	buffer_gl0_inv
                                        ; implicit-def: $vgpr132_vgpr133
	s_and_saveexec_b32 s1, s0
	s_cbranch_execz .LBB0_9
; %bb.8:
	ds_read_b128 v[84:87], v255
	ds_read_b128 v[88:91], v255 offset:1584
	ds_read_b128 v[96:99], v255 offset:3168
	;; [unrolled: 1-line block ×12, first 2 shown]
.LBB0_9:
	s_or_b32 exec_lo, exec_lo, s1
	v_and_b32_e32 v42, 0xff, v45
	s_mov_b32 s12, 0x4267c47c
	s_mov_b32 s13, 0xbfddbe06
	;; [unrolled: 1-line block ×4, first 2 shown]
	v_mul_lo_u16 v0, 0xab, v42
	s_mov_b32 s5, 0x3fec55a7
	s_mov_b32 s25, 0xbfea55e2
	;; [unrolled: 1-line block ×4, first 2 shown]
	v_lshrrev_b16 v0, 9, v0
	s_mov_b32 s22, 0x66966769
	s_mov_b32 s23, 0xbfefc445
	;; [unrolled: 1-line block ×4, first 2 shown]
	buffer_store_dword v0, off, s[48:51], 0 offset:164 ; 4-byte Folded Spill
	v_mul_lo_u16 v0, v0, 3
	s_mov_b32 s20, 0x2ef20147
	s_mov_b32 s21, 0xbfedeba7
	;; [unrolled: 1-line block ×4, first 2 shown]
	v_sub_nc_u16 v0, v45, v0
	s_mov_b32 s42, 0x24c2f84
	s_mov_b32 s43, 0x3fe5384d
	;; [unrolled: 1-line block ×4, first 2 shown]
	v_and_b32_e32 v0, 0xff, v0
	s_mov_b32 s26, 0xd0032e0c
	s_mov_b32 s27, 0xbfe7f3cc
	;; [unrolled: 1-line block ×4, first 2 shown]
	buffer_store_dword v0, off, s[48:51], 0 offset:168 ; 4-byte Folded Spill
	v_mul_u32_u24_e32 v0, 12, v0
	s_mov_b32 s28, 0x93053d00
	s_mov_b32 s29, 0xbfef11f4
	s_mov_b32 s31, 0x3fefc445
	s_mov_b32 s30, s22
	v_lshlrev_b32_e32 v0, 4, v0
	s_mov_b32 s39, 0x3fddbe06
	s_mov_b32 s38, s12
	s_clause 0xb
	global_load_dwordx4 v[20:23], v0, s[2:3]
	global_load_dwordx4 v[46:49], v0, s[2:3] offset:176
	global_load_dwordx4 v[38:41], v0, s[2:3] offset:16
	;; [unrolled: 1-line block ×11, first 2 shown]
	s_mov_b32 s37, 0x3fedeba7
	s_mov_b32 s36, s20
	;; [unrolled: 1-line block ×6, first 2 shown]
	s_waitcnt vmcnt(11) lgkmcnt(11)
	v_mul_f64 v[0:1], v[88:89], v[22:23]
	s_waitcnt vmcnt(10) lgkmcnt(0)
	v_mul_f64 v[2:3], v[132:133], v[48:49]
	v_mul_f64 v[4:5], v[90:91], v[22:23]
	;; [unrolled: 1-line block ×3, first 2 shown]
	s_waitcnt vmcnt(9)
	v_mul_f64 v[8:9], v[96:97], v[40:41]
	s_waitcnt vmcnt(8)
	v_mul_f64 v[12:13], v[128:129], v[52:53]
	v_mul_f64 v[10:11], v[98:99], v[40:41]
	;; [unrolled: 1-line block ×3, first 2 shown]
	s_waitcnt vmcnt(1)
	v_mul_f64 v[24:25], v[114:115], v[28:29]
	v_fma_f64 v[14:15], v[90:91], v[20:21], v[0:1]
	v_fma_f64 v[43:44], v[134:135], v[46:47], v[2:3]
	buffer_store_dword v20, off, s[48:51], 0 offset:172 ; 4-byte Folded Spill
	buffer_store_dword v21, off, s[48:51], 0 offset:176 ; 4-byte Folded Spill
	;; [unrolled: 1-line block ×8, first 2 shown]
	v_mul_f64 v[0:1], v[92:93], v[32:33]
	v_mul_f64 v[2:3], v[94:95], v[32:33]
	v_fma_f64 v[134:135], v[98:99], v[38:39], v[8:9]
	buffer_store_dword v38, off, s[48:51], 0 offset:260 ; 4-byte Folded Spill
	buffer_store_dword v39, off, s[48:51], 0 offset:264 ; 4-byte Folded Spill
	;; [unrolled: 1-line block ×4, first 2 shown]
	v_fma_f64 v[130:131], v[130:131], v[50:51], v[12:13]
	buffer_store_dword v50, off, s[48:51], 0 offset:292 ; 4-byte Folded Spill
	buffer_store_dword v51, off, s[48:51], 0 offset:296 ; 4-byte Folded Spill
	buffer_store_dword v52, off, s[48:51], 0 offset:300 ; 4-byte Folded Spill
	buffer_store_dword v53, off, s[48:51], 0 offset:304 ; 4-byte Folded Spill
	v_mul_f64 v[22:23], v[102:103], v[56:57]
	v_mul_f64 v[8:9], v[106:107], v[60:61]
	v_fma_f64 v[154:155], v[112:113], v[26:27], -v[24:25]
	v_mul_f64 v[12:13], v[120:121], v[82:83]
	v_fma_f64 v[138:139], v[94:95], v[30:31], v[0:1]
	buffer_store_dword v30, off, s[48:51], 0 offset:212 ; 4-byte Folded Spill
	buffer_store_dword v31, off, s[48:51], 0 offset:216 ; 4-byte Folded Spill
	;; [unrolled: 1-line block ×4, first 2 shown]
	v_mul_f64 v[0:1], v[122:123], v[82:83]
	v_add_f64 v[176:177], v[134:135], v[130:131]
	v_fma_f64 v[140:141], v[104:105], v[58:59], -v[8:9]
	s_waitcnt vmcnt(0)
	v_mul_f64 v[8:9], v[116:117], v[78:79]
	v_fma_f64 v[122:123], v[122:123], v[80:81], v[12:13]
	v_fma_f64 v[120:121], v[120:121], v[80:81], -v[0:1]
	v_mul_f64 v[0:1], v[118:119], v[78:79]
	v_fma_f64 v[170:171], v[118:119], v[76:77], v[8:9]
	v_fma_f64 v[162:163], v[116:117], v[76:77], -v[0:1]
	v_add_f64 v[160:161], v[140:141], -v[162:163]
	v_mul_f64 v[243:244], v[160:161], s[44:45]
	v_mul_f64 v[235:236], v[160:161], s[24:25]
	;; [unrolled: 1-line block ×3, first 2 shown]
	v_fma_f64 v[16:17], v[88:89], v[20:21], -v[4:5]
	v_fma_f64 v[88:89], v[132:133], v[46:47], -v[6:7]
	v_mul_f64 v[6:7], v[100:101], v[56:57]
	v_mul_f64 v[4:5], v[124:125], v[74:75]
	;; [unrolled: 1-line block ×3, first 2 shown]
	v_fma_f64 v[132:133], v[96:97], v[38:39], -v[10:11]
	v_mul_f64 v[10:11], v[104:105], v[60:61]
	v_fma_f64 v[128:129], v[128:129], v[50:51], -v[18:19]
	v_add_f64 v[18:19], v[14:15], -v[43:44]
	v_add_f64 v[104:105], v[134:135], -v[130:131]
	v_fma_f64 v[146:147], v[102:103], v[54:55], v[6:7]
	buffer_store_dword v54, off, s[48:51], 0 offset:308 ; 4-byte Folded Spill
	buffer_store_dword v55, off, s[48:51], 0 offset:312 ; 4-byte Folded Spill
	;; [unrolled: 1-line block ×4, first 2 shown]
	v_fma_f64 v[136:137], v[92:93], v[30:31], -v[2:3]
	v_mul_f64 v[2:3], v[110:111], v[36:37]
	v_fma_f64 v[126:127], v[126:127], v[72:73], v[4:5]
	v_mul_f64 v[4:5], v[108:109], v[36:37]
	v_mul_f64 v[6:7], v[112:113], v[28:29]
	buffer_store_dword v58, off, s[48:51], 0 offset:324 ; 4-byte Folded Spill
	buffer_store_dword v59, off, s[48:51], 0 offset:328 ; 4-byte Folded Spill
	;; [unrolled: 1-line block ×4, first 2 shown]
	v_fma_f64 v[124:125], v[124:125], v[72:73], -v[20:21]
	v_mul_f64 v[20:21], v[18:19], s[12:13]
	v_add_f64 v[178:179], v[132:133], -v[128:129]
	v_mul_f64 v[30:31], v[18:19], s[24:25]
	v_mul_f64 v[251:252], v[104:105], s[20:21]
	;; [unrolled: 1-line block ×5, first 2 shown]
	v_add_f64 v[112:113], v[146:147], -v[122:123]
	v_add_f64 v[116:117], v[146:147], v[122:123]
	v_fma_f64 v[168:169], v[108:109], v[34:35], -v[2:3]
	buffer_store_dword v34, off, s[48:51], 0 offset:236 ; 4-byte Folded Spill
	buffer_store_dword v35, off, s[48:51], 0 offset:240 ; 4-byte Folded Spill
	;; [unrolled: 1-line block ×8, first 2 shown]
	v_add_f64 v[108:109], v[132:133], v[128:129]
	v_add_f64 v[28:29], v[16:17], -v[88:89]
	v_add_f64 v[152:153], v[138:139], -v[126:127]
	v_add_f64 v[118:119], v[136:137], v[124:125]
	v_mul_f64 v[211:212], v[178:179], s[24:25]
	v_add_f64 v[182:183], v[136:137], -v[124:125]
	v_add_f64 v[180:181], v[138:139], v[126:127]
	v_mul_f64 v[8:9], v[178:179], s[20:21]
	v_mul_f64 v[208:209], v[178:179], s[34:35]
	;; [unrolled: 1-line block ×3, first 2 shown]
	s_waitcnt_vscnt null, 0x0
	s_barrier
	buffer_gl0_inv
	v_mul_f64 v[219:220], v[112:113], s[20:21]
	v_mul_f64 v[247:248], v[112:113], s[42:43]
	;; [unrolled: 1-line block ×3, first 2 shown]
	v_add_f64 v[150:151], v[168:169], -v[154:155]
	v_mul_f64 v[56:57], v[112:113], s[22:23]
	v_fma_f64 v[94:95], v[108:109], s[28:29], v[245:246]
	v_mul_f64 v[24:25], v[28:29], s[12:13]
	v_mul_f64 v[215:216], v[152:153], s[22:23]
	;; [unrolled: 1-line block ×8, first 2 shown]
	v_fma_f64 v[198:199], v[176:177], s[26:27], -v[229:230]
	v_mul_f64 v[217:218], v[152:153], s[38:39]
	v_mul_f64 v[225:226], v[182:183], s[38:39]
	;; [unrolled: 1-line block ×5, first 2 shown]
	v_fma_f64 v[144:145], v[100:101], v[54:55], -v[22:23]
	v_add_f64 v[22:23], v[16:17], v[88:89]
	v_mul_f64 v[54:55], v[104:105], s[24:25]
	v_fma_f64 v[100:101], v[176:177], s[28:29], -v[208:209]
	v_fma_f64 v[142:143], v[106:107], v[58:59], v[10:11]
	v_add_f64 v[106:107], v[140:141], v[162:163]
	v_add_f64 v[164:165], v[144:145], -v[120:121]
	v_fma_f64 v[2:3], v[22:23], s[4:5], v[20:21]
	v_fma_f64 v[0:1], v[108:109], s[14:15], v[54:55]
	;; [unrolled: 1-line block ×4, first 2 shown]
	v_add_f64 v[26:27], v[14:15], v[43:44]
	v_fma_f64 v[4:5], v[176:177], s[14:15], -v[211:212]
	v_add_f64 v[110:111], v[144:145], v[120:121]
	v_add_f64 v[148:149], v[142:143], -v[170:171]
	v_add_f64 v[184:185], v[142:143], v[170:171]
	v_add_f64 v[114:115], v[168:169], v[154:155]
	v_mul_f64 v[231:232], v[164:165], s[20:21]
	v_add_f64 v[2:3], v[84:85], v[2:3]
	v_mul_f64 v[253:254], v[164:165], s[42:43]
	v_mul_f64 v[237:238], v[164:165], s[38:39]
	v_add_f64 v[174:175], v[172:173], -v[166:167]
	v_add_f64 v[186:187], v[172:173], v[166:167]
	v_mul_f64 v[206:207], v[164:165], s[22:23]
	v_mul_f64 v[241:242], v[148:149], s[44:45]
	;; [unrolled: 1-line block ×5, first 2 shown]
	v_add_f64 v[0:1], v[0:1], v[2:3]
	v_fma_f64 v[2:3], v[26:27], s[4:5], -v[24:25]
	v_mul_f64 v[36:37], v[174:175], s[38:39]
	v_mul_f64 v[38:39], v[174:175], s[44:45]
	;; [unrolled: 1-line block ×3, first 2 shown]
	v_fma_f64 v[200:201], v[106:107], s[28:29], v[50:51]
	v_add_f64 v[2:3], v[86:87], v[2:3]
	v_add_f64 v[2:3], v[4:5], v[2:3]
	v_fma_f64 v[4:5], v[118:119], s[18:19], v[215:216]
	v_add_f64 v[0:1], v[4:5], v[0:1]
	v_fma_f64 v[4:5], v[180:181], s[18:19], -v[221:222]
	v_add_f64 v[2:3], v[4:5], v[2:3]
	v_fma_f64 v[4:5], v[110:111], s[16:17], v[219:220]
	v_add_f64 v[0:1], v[4:5], v[0:1]
	v_fma_f64 v[4:5], v[116:117], s[16:17], -v[231:232]
	;; [unrolled: 4-line block ×3, first 2 shown]
	v_add_f64 v[2:3], v[0:1], v[2:3]
	v_mul_f64 v[0:1], v[174:175], s[34:35]
	v_fma_f64 v[6:7], v[114:115], s[28:29], v[0:1]
	v_add_f64 v[156:157], v[6:7], v[4:5]
	v_fma_f64 v[4:5], v[186:187], s[28:29], -v[12:13]
	v_fma_f64 v[6:7], v[176:177], s[16:17], -v[8:9]
	v_add_f64 v[158:159], v[4:5], v[2:3]
	v_fma_f64 v[2:3], v[22:23], s[14:15], v[30:31]
	v_fma_f64 v[4:5], v[108:109], s[16:17], v[251:252]
	v_add_f64 v[2:3], v[84:85], v[2:3]
	v_add_f64 v[2:3], v[4:5], v[2:3]
	v_fma_f64 v[4:5], v[26:27], s[14:15], -v[32:33]
	v_add_f64 v[4:5], v[86:87], v[4:5]
	v_add_f64 v[6:7], v[6:7], v[4:5]
	v_mul_f64 v[4:5], v[152:153], s[34:35]
	v_fma_f64 v[10:11], v[118:119], s[28:29], v[4:5]
	v_add_f64 v[2:3], v[10:11], v[2:3]
	v_mul_f64 v[10:11], v[182:183], s[34:35]
	v_fma_f64 v[34:35], v[180:181], s[28:29], -v[10:11]
	v_add_f64 v[6:7], v[34:35], v[6:7]
	v_fma_f64 v[34:35], v[110:111], s[26:27], v[247:248]
	v_add_f64 v[2:3], v[34:35], v[2:3]
	v_fma_f64 v[34:35], v[116:117], s[26:27], -v[253:254]
	v_add_f64 v[6:7], v[34:35], v[6:7]
	v_fma_f64 v[34:35], v[106:107], s[18:19], v[249:250]
	v_add_f64 v[34:35], v[34:35], v[2:3]
	v_mul_f64 v[2:3], v[160:161], s[30:31]
	v_fma_f64 v[92:93], v[184:185], s[18:19], -v[2:3]
	v_add_f64 v[92:93], v[92:93], v[6:7]
	v_fma_f64 v[6:7], v[114:115], s[4:5], v[36:37]
	v_add_f64 v[96:97], v[6:7], v[34:35]
	v_mul_f64 v[6:7], v[150:151], s[38:39]
	v_fma_f64 v[34:35], v[186:187], s[4:5], -v[6:7]
	v_add_f64 v[98:99], v[34:35], v[92:93]
	v_mul_f64 v[34:35], v[18:19], s[22:23]
	v_fma_f64 v[92:93], v[22:23], s[18:19], v[34:35]
	v_add_f64 v[92:93], v[84:85], v[92:93]
	v_add_f64 v[92:93], v[94:95], v[92:93]
	v_fma_f64 v[94:95], v[26:27], s[18:19], -v[188:189]
	v_add_f64 v[94:95], v[86:87], v[94:95]
	v_add_f64 v[94:95], v[100:101], v[94:95]
	v_fma_f64 v[100:101], v[118:119], s[16:17], v[233:234]
	v_add_f64 v[92:93], v[100:101], v[92:93]
	v_fma_f64 v[100:101], v[180:181], s[16:17], -v[239:240]
	v_add_f64 v[94:95], v[100:101], v[94:95]
	v_fma_f64 v[100:101], v[110:111], s[4:5], v[227:228]
	v_add_f64 v[92:93], v[100:101], v[92:93]
	v_fma_f64 v[100:101], v[116:117], s[4:5], -v[237:238]
	;; [unrolled: 4-line block ×4, first 2 shown]
	v_add_f64 v[102:103], v[92:93], v[94:95]
	v_fma_f64 v[92:93], v[22:23], s[16:17], v[190:191]
	v_fma_f64 v[94:95], v[108:109], s[26:27], v[194:195]
	v_add_f64 v[92:93], v[84:85], v[92:93]
	v_add_f64 v[92:93], v[94:95], v[92:93]
	v_fma_f64 v[94:95], v[26:27], s[16:17], -v[192:193]
	v_add_f64 v[94:95], v[86:87], v[94:95]
	v_add_f64 v[94:95], v[198:199], v[94:95]
	v_fma_f64 v[198:199], v[118:119], s[4:5], v[217:218]
	v_add_f64 v[92:93], v[198:199], v[92:93]
	v_fma_f64 v[198:199], v[180:181], s[4:5], -v[225:226]
	v_add_f64 v[94:95], v[198:199], v[94:95]
	v_fma_f64 v[198:199], v[110:111], s[18:19], v[56:57]
	v_add_f64 v[92:93], v[198:199], v[92:93]
	v_fma_f64 v[198:199], v[116:117], s[18:19], -v[206:207]
	v_add_f64 v[92:93], v[200:201], v[92:93]
	v_add_f64 v[94:95], v[198:199], v[94:95]
	v_fma_f64 v[198:199], v[184:185], s[28:29], -v[52:53]
	v_add_f64 v[94:95], v[198:199], v[94:95]
	v_fma_f64 v[198:199], v[114:115], s[14:15], v[46:47]
	v_add_f64 v[92:93], v[198:199], v[92:93]
	v_fma_f64 v[198:199], v[186:187], s[14:15], -v[48:49]
	v_add_f64 v[94:95], v[198:199], v[94:95]
	s_and_saveexec_b32 s1, s0
	s_cbranch_execz .LBB0_11
; %bb.10:
	v_mul_f64 v[198:199], v[26:27], s[28:29]
	v_mul_f64 v[202:203], v[26:27], s[26:27]
	v_add_f64 v[14:15], v[86:87], v[14:15]
	v_add_f64 v[16:17], v[84:85], v[16:17]
	v_fma_f64 v[200:201], v[28:29], s[40:41], v[198:199]
	v_fma_f64 v[198:199], v[28:29], s[34:35], v[198:199]
	;; [unrolled: 1-line block ×4, first 2 shown]
	v_mul_f64 v[202:203], v[26:27], s[16:17]
	v_add_f64 v[14:15], v[14:15], v[134:135]
	v_add_f64 v[16:17], v[16:17], v[132:133]
	v_mul_f64 v[132:133], v[180:181], s[16:17]
	v_mul_f64 v[134:135], v[118:119], s[16:17]
	v_add_f64 v[198:199], v[86:87], v[198:199]
	v_add_f64 v[28:29], v[86:87], v[28:29]
	;; [unrolled: 1-line block ×3, first 2 shown]
	v_mul_f64 v[202:203], v[22:23], s[16:17]
	v_add_f64 v[14:15], v[14:15], v[138:139]
	v_add_f64 v[16:17], v[16:17], v[136:137]
	;; [unrolled: 1-line block ×3, first 2 shown]
	v_add_f64 v[134:135], v[134:135], -v[233:234]
	v_mul_f64 v[136:137], v[116:117], s[4:5]
	v_add_f64 v[192:193], v[86:87], v[192:193]
	v_add_f64 v[190:191], v[202:203], -v[190:191]
	v_mul_f64 v[202:203], v[26:27], s[18:19]
	v_add_f64 v[14:15], v[14:15], v[146:147]
	v_add_f64 v[16:17], v[16:17], v[144:145]
	v_mul_f64 v[144:145], v[152:153], s[24:25]
	v_add_f64 v[136:137], v[237:238], v[136:137]
	v_add_f64 v[190:191], v[84:85], v[190:191]
	;; [unrolled: 1-line block ×3, first 2 shown]
	v_mul_f64 v[202:203], v[22:23], s[18:19]
	v_add_f64 v[14:15], v[14:15], v[142:143]
	v_add_f64 v[16:17], v[16:17], v[140:141]
	v_mul_f64 v[140:141], v[176:177], s[26:27]
	v_fma_f64 v[146:147], v[118:119], s[14:15], v[144:145]
	v_fma_f64 v[144:145], v[118:119], s[14:15], -v[144:145]
	v_add_f64 v[188:189], v[86:87], v[188:189]
	v_add_f64 v[34:35], v[202:203], -v[34:35]
	v_mul_f64 v[202:203], v[26:27], s[14:15]
	v_mul_f64 v[26:27], v[26:27], s[4:5]
	v_add_f64 v[14:15], v[14:15], v[172:173]
	v_add_f64 v[140:141], v[229:230], v[140:141]
	;; [unrolled: 1-line block ×5, first 2 shown]
	v_mul_f64 v[202:203], v[22:23], s[14:15]
	v_add_f64 v[24:25], v[24:25], v[26:27]
	v_mul_f64 v[26:27], v[18:19], s[34:35]
	v_mul_f64 v[18:19], v[18:19], s[44:45]
	v_add_f64 v[14:15], v[14:15], v[166:167]
	v_add_f64 v[16:17], v[16:17], v[154:155]
	;; [unrolled: 1-line block ×3, first 2 shown]
	v_add_f64 v[30:31], v[202:203], -v[30:31]
	v_add_f64 v[24:25], v[86:87], v[24:25]
	v_fma_f64 v[202:203], v[22:23], s[28:29], v[26:27]
	v_fma_f64 v[26:27], v[22:23], s[28:29], -v[26:27]
	v_fma_f64 v[90:91], v[22:23], s[26:27], v[18:19]
	v_fma_f64 v[18:19], v[22:23], s[26:27], -v[18:19]
	v_mul_f64 v[22:23], v[22:23], s[4:5]
	v_add_f64 v[14:15], v[14:15], v[170:171]
	v_add_f64 v[16:17], v[16:17], v[162:163]
	;; [unrolled: 1-line block ×6, first 2 shown]
	v_add_f64 v[20:21], v[22:23], -v[20:21]
	v_add_f64 v[14:15], v[14:15], v[122:123]
	v_add_f64 v[22:23], v[86:87], v[200:201]
	;; [unrolled: 1-line block ×4, first 2 shown]
	v_mul_f64 v[204:205], v[180:181], s[18:19]
	v_mul_f64 v[86:87], v[108:109], s[14:15]
	v_add_f64 v[16:17], v[16:17], v[120:121]
	v_mul_f64 v[122:123], v[180:181], s[4:5]
	v_add_f64 v[20:21], v[84:85], v[20:21]
	;; [unrolled: 2-line block ×3, first 2 shown]
	v_add_f64 v[126:127], v[140:141], v[192:193]
	v_mul_f64 v[140:141], v[114:115], s[4:5]
	v_add_f64 v[204:205], v[221:222], v[204:205]
	v_mul_f64 v[221:222], v[176:177], s[4:5]
	v_add_f64 v[86:87], v[86:87], -v[54:55]
	v_add_f64 v[122:123], v[225:226], v[122:123]
	v_add_f64 v[16:17], v[16:17], v[124:125]
	;; [unrolled: 1-line block ×3, first 2 shown]
	v_mul_f64 v[211:212], v[118:119], s[18:19]
	v_add_f64 v[130:131], v[14:15], v[130:131]
	v_add_f64 v[140:141], v[140:141], -v[36:37]
	buffer_load_dword v37, off, s[48:51], 0 offset:164 ; 4-byte Folded Reload
	v_mov_b32_e32 v36, 39
	v_add_f64 v[20:21], v[86:87], v[20:21]
	v_mul_f64 v[86:87], v[186:187], s[28:29]
	v_add_f64 v[16:17], v[16:17], v[128:129]
	v_add_f64 v[24:25], v[84:85], v[24:25]
	v_add_f64 v[211:212], v[211:212], -v[215:216]
	v_mul_f64 v[215:216], v[116:117], s[16:17]
	v_mul_f64 v[84:85], v[106:107], s[26:27]
	v_add_f64 v[12:13], v[12:13], v[86:87]
	v_mul_f64 v[86:87], v[180:181], s[26:27]
	v_add_f64 v[24:25], v[204:205], v[24:25]
	v_mul_f64 v[204:205], v[180:181], s[28:29]
	v_add_f64 v[215:216], v[231:232], v[215:216]
	v_fma_f64 v[231:232], v[178:179], s[12:13], v[221:222]
	v_add_f64 v[20:21], v[211:212], v[20:21]
	v_add_f64 v[84:85], v[84:85], -v[241:242]
	v_add_f64 v[10:11], v[10:11], v[204:205]
	v_mul_f64 v[204:205], v[118:119], s[28:29]
	v_add_f64 v[22:23], v[231:232], v[22:23]
	v_mul_f64 v[231:232], v[104:105], s[38:39]
	v_mul_f64 v[104:105], v[104:105], s[30:31]
	v_add_f64 v[24:25], v[215:216], v[24:25]
	v_add_f64 v[4:5], v[204:205], -v[4:5]
	v_mul_f64 v[204:205], v[116:117], s[14:15]
	v_fma_f64 v[90:91], v[108:109], s[4:5], v[231:232]
	v_fma_f64 v[142:143], v[108:109], s[18:19], v[104:105]
	v_fma_f64 v[104:105], v[108:109], s[18:19], -v[104:105]
	v_fma_f64 v[211:212], v[164:165], s[24:25], v[204:205]
	v_add_f64 v[90:91], v[90:91], v[200:201]
	v_fma_f64 v[200:201], v[178:179], s[38:39], v[221:222]
	v_fma_f64 v[221:222], v[182:183], s[42:43], v[86:87]
	;; [unrolled: 1-line block ×4, first 2 shown]
	v_add_f64 v[18:19], v[104:105], v[18:19]
	v_mul_f64 v[104:105], v[112:113], s[40:41]
	v_add_f64 v[198:199], v[200:201], v[198:199]
	v_fma_f64 v[200:201], v[108:109], s[4:5], -v[231:232]
	v_add_f64 v[22:23], v[221:222], v[22:23]
	v_mul_f64 v[221:222], v[152:153], s[44:45]
	v_add_f64 v[18:19], v[144:145], v[18:19]
	v_add_f64 v[86:87], v[86:87], v[198:199]
	;; [unrolled: 1-line block ×3, first 2 shown]
	v_mul_f64 v[200:201], v[110:111], s[16:17]
	v_fma_f64 v[198:199], v[118:119], s[26:27], -v[221:222]
	v_fma_f64 v[231:232], v[118:119], s[26:27], v[221:222]
	v_add_f64 v[22:23], v[211:212], v[22:23]
	v_mul_f64 v[211:212], v[112:113], s[46:47]
	v_mul_f64 v[118:119], v[118:119], s[4:5]
	v_add_f64 v[112:113], v[122:123], v[126:127]
	v_mul_f64 v[122:123], v[184:185], s[4:5]
	v_mul_f64 v[126:127], v[184:185], s[28:29]
	v_add_f64 v[86:87], v[204:205], v[86:87]
	v_add_f64 v[200:201], v[200:201], -v[219:220]
	v_add_f64 v[26:27], v[198:199], v[26:27]
	v_mul_f64 v[198:199], v[114:115], s[28:29]
	v_add_f64 v[90:91], v[231:232], v[90:91]
	v_fma_f64 v[221:222], v[110:111], s[14:15], v[211:212]
	v_fma_f64 v[204:205], v[110:111], s[14:15], -v[211:212]
	v_add_f64 v[118:119], v[118:119], -v[217:218]
	v_mul_f64 v[219:220], v[184:185], s[26:27]
	v_mul_f64 v[211:212], v[184:185], s[18:19]
	v_add_f64 v[126:127], v[52:53], v[126:127]
	v_add_f64 v[20:21], v[200:201], v[20:21]
	v_mul_f64 v[200:201], v[116:117], s[26:27]
	v_add_f64 v[198:199], v[198:199], -v[0:1]
	v_mul_f64 v[0:1], v[176:177], s[16:17]
	v_add_f64 v[90:91], v[221:222], v[90:91]
	v_add_f64 v[26:27], v[204:205], v[26:27]
	v_mul_f64 v[204:205], v[110:111], s[26:27]
	v_add_f64 v[219:220], v[243:244], v[219:220]
	v_add_f64 v[2:3], v[2:3], v[211:212]
	;; [unrolled: 1-line block ×5, first 2 shown]
	v_mul_f64 v[8:9], v[108:109], s[16:17]
	v_add_f64 v[204:205], v[204:205], -v[247:248]
	v_add_f64 v[24:25], v[219:220], v[24:25]
	v_add_f64 v[0:1], v[0:1], v[32:33]
	v_add_f64 v[8:9], v[8:9], -v[251:252]
	v_add_f64 v[0:1], v[10:11], v[0:1]
	v_add_f64 v[8:9], v[8:9], v[30:31]
	v_mul_f64 v[10:11], v[148:149], s[20:21]
	v_mul_f64 v[30:31], v[106:107], s[18:19]
	v_add_f64 v[0:1], v[200:201], v[0:1]
	v_add_f64 v[4:5], v[4:5], v[8:9]
	v_mul_f64 v[8:9], v[186:187], s[4:5]
	v_mul_f64 v[200:201], v[108:109], s[28:29]
	;; [unrolled: 1-line block ×3, first 2 shown]
	v_add_f64 v[30:31], v[30:31], -v[249:250]
	v_add_f64 v[152:153], v[2:3], v[0:1]
	v_add_f64 v[4:5], v[204:205], v[4:5]
	;; [unrolled: 1-line block ×3, first 2 shown]
	v_mul_f64 v[6:7], v[184:185], s[16:17]
	v_add_f64 v[200:201], v[200:201], -v[245:246]
	v_add_f64 v[108:109], v[108:109], -v[194:195]
	s_waitcnt vmcnt(0)
	v_mul_u32_u24_sdwa v36, v37, v36 dst_sel:DWORD dst_unused:UNUSED_PAD src0_sel:WORD_0 src1_sel:DWORD
	buffer_load_dword v37, off, s[48:51], 0 offset:168 ; 4-byte Folded Reload
	v_add_f64 v[30:31], v[30:31], v[4:5]
	v_add_f64 v[14:15], v[32:33], v[152:153]
	v_fma_f64 v[8:9], v[160:161], s[36:37], v[6:7]
	v_add_f64 v[34:35], v[200:201], v[34:35]
	v_fma_f64 v[6:7], v[160:161], s[20:21], v[6:7]
	v_add_f64 v[108:109], v[108:109], v[190:191]
	v_add_f64 v[8:9], v[8:9], v[22:23]
	v_fma_f64 v[22:23], v[106:107], s[16:17], v[10:11]
	v_add_f64 v[34:35], v[134:135], v[34:35]
	v_add_f64 v[6:7], v[6:7], v[86:87]
	v_mul_f64 v[86:87], v[180:181], s[14:15]
	v_fma_f64 v[10:11], v[106:107], s[16:17], -v[10:11]
	v_mul_f64 v[134:135], v[184:185], s[14:15]
	v_add_f64 v[108:109], v[118:119], v[108:109]
	v_mul_f64 v[118:119], v[106:107], s[28:29]
	v_add_f64 v[22:23], v[22:23], v[90:91]
	v_mul_f64 v[90:91], v[176:177], s[28:29]
	v_fma_f64 v[120:121], v[182:183], s[46:47], v[86:87]
	v_fma_f64 v[86:87], v[182:183], s[24:25], v[86:87]
	v_add_f64 v[10:11], v[10:11], v[26:27]
	v_add_f64 v[26:27], v[142:143], v[58:59]
	;; [unrolled: 1-line block ×3, first 2 shown]
	v_mul_f64 v[142:143], v[114:115], s[26:27]
	v_add_f64 v[118:119], v[118:119], -v[50:51]
	v_add_f64 v[90:91], v[208:209], v[90:91]
	v_add_f64 v[26:27], v[146:147], v[26:27]
	v_mul_f64 v[146:147], v[186:187], s[14:15]
	v_add_f64 v[90:91], v[90:91], v[188:189]
	v_add_f64 v[90:91], v[132:133], v[90:91]
	v_mul_f64 v[132:133], v[110:111], s[4:5]
	v_add_f64 v[90:91], v[136:137], v[90:91]
	v_add_f64 v[132:133], v[132:133], -v[227:228]
	v_mul_f64 v[136:137], v[106:107], s[14:15]
	v_add_f64 v[90:91], v[134:135], v[90:91]
	v_add_f64 v[34:35], v[132:133], v[34:35]
	v_mul_f64 v[132:133], v[176:177], s[18:19]
	v_add_f64 v[136:137], v[136:137], -v[223:224]
	v_add_f64 v[134:135], v[142:143], -v[38:39]
	v_fma_f64 v[138:139], v[178:179], s[22:23], v[132:133]
	v_fma_f64 v[132:133], v[178:179], s[30:31], v[132:133]
	v_add_f64 v[34:35], v[136:137], v[34:35]
	v_add_f64 v[138:139], v[138:139], v[202:203]
	;; [unrolled: 1-line block ×3, first 2 shown]
	v_mul_f64 v[132:133], v[186:187], s[18:19]
	v_add_f64 v[84:85], v[120:121], v[138:139]
	v_mul_f64 v[120:121], v[116:117], s[28:29]
	v_add_f64 v[28:29], v[86:87], v[28:29]
	v_mul_f64 v[86:87], v[116:117], s[18:19]
	v_fma_f64 v[116:117], v[110:111], s[28:29], v[104:105]
	v_fma_f64 v[104:105], v[110:111], s[28:29], -v[104:105]
	v_mul_f64 v[110:111], v[110:111], s[18:19]
	v_mul_f64 v[138:139], v[148:149], s[38:39]
	v_mul_f64 v[148:149], v[174:175], s[20:21]
	v_fma_f64 v[144:145], v[150:151], s[22:23], v[132:133]
	v_fma_f64 v[132:133], v[150:151], s[30:31], v[132:133]
	;; [unrolled: 1-line block ×4, first 2 shown]
	v_add_f64 v[86:87], v[206:207], v[86:87]
	v_add_f64 v[26:27], v[116:117], v[26:27]
	v_fma_f64 v[116:117], v[160:161], s[12:13], v[122:123]
	v_add_f64 v[110:111], v[110:111], -v[56:57]
	v_fma_f64 v[122:123], v[160:161], s[38:39], v[122:123]
	v_add_f64 v[18:19], v[104:105], v[18:19]
	v_fma_f64 v[104:105], v[106:107], s[4:5], -v[138:139]
	v_fma_f64 v[106:107], v[106:107], s[4:5], v[138:139]
	v_add_f64 v[2:3], v[144:145], v[8:9]
	v_add_f64 v[8:9], v[198:199], v[20:21]
	;; [unrolled: 1-line block ×6, first 2 shown]
	v_mul_f64 v[124:125], v[174:175], s[30:31]
	v_add_f64 v[28:29], v[120:121], v[28:29]
	v_mul_f64 v[120:121], v[186:187], s[26:27]
	v_add_f64 v[86:87], v[86:87], v[112:113]
	;; [unrolled: 2-line block ×4, first 2 shown]
	v_add_f64 v[106:107], v[106:107], v[26:27]
	v_add_f64 v[84:85], v[116:117], v[84:85]
	v_fma_f64 v[138:139], v[114:115], s[18:19], v[124:125]
	v_fma_f64 v[124:125], v[114:115], s[18:19], -v[124:125]
	v_add_f64 v[120:121], v[40:41], v[120:121]
	v_add_f64 v[28:29], v[122:123], v[28:29]
	v_fma_f64 v[128:129], v[150:151], s[36:37], v[112:113]
	v_fma_f64 v[112:113], v[150:151], s[20:21], v[112:113]
	v_add_f64 v[122:123], v[48:49], v[146:147]
	v_add_f64 v[86:87], v[126:127], v[86:87]
	v_add_f64 v[110:111], v[110:111], -v[46:47]
	v_add_f64 v[108:109], v[118:119], v[108:109]
	v_fma_f64 v[118:119], v[114:115], s[16:17], -v[148:149]
	v_fma_f64 v[114:115], v[114:115], s[16:17], v[148:149]
	s_waitcnt vmcnt(0)
	v_add_lshl_u32 v36, v36, v37, 4
	v_add_f64 v[0:1], v[138:139], v[22:23]
	v_add_f64 v[22:23], v[130:131], v[43:44]
	;; [unrolled: 1-line block ×12, first 2 shown]
	ds_write_b128 v36, v[20:23]
	ds_write_b128 v36, v[8:11] offset:48
	ds_write_b128 v36, v[12:15] offset:96
	;; [unrolled: 1-line block ×12, first 2 shown]
.LBB0_11:
	s_or_b32 exec_lo, exec_lo, s1
	s_waitcnt lgkmcnt(0)
	s_barrier
	buffer_gl0_inv
	ds_read_b128 v[108:111], v255
	ds_read_b128 v[104:107], v255 offset:1872
	ds_read_b128 v[128:131], v255 offset:13728
	;; [unrolled: 1-line block ×8, first 2 shown]
	s_and_saveexec_b32 s1, vcc_lo
	s_cbranch_execz .LBB0_13
; %bb.12:
	ds_read_b128 v[92:95], v255 offset:5616
	ds_read_b128 v[100:103], v255 offset:12480
	ds_read_b128 v[96:99], v255 offset:19344
.LBB0_13:
	s_or_b32 exec_lo, exec_lo, s1
	v_mul_lo_u16 v0, 0xa5, v42
	v_and_b32_e32 v1, 0xff, v214
	v_mov_b32_e32 v2, 0xa41b
	s_mov_b32 s4, 0xe8584caa
	s_mov_b32 s5, 0x3febb67a
	v_lshrrev_b16 v0, 8, v0
	v_mul_lo_u16 v1, 0xa5, v1
	v_mul_u32_u24_sdwa v3, v196, v2 dst_sel:DWORD dst_unused:UNUSED_PAD src0_sel:WORD_0 src1_sel:DWORD
	v_mul_u32_u24_sdwa v2, v197, v2 dst_sel:DWORD dst_unused:UNUSED_PAD src0_sel:WORD_0 src1_sel:DWORD
	s_mov_b32 s13, 0xbfebb67a
	v_sub_nc_u16 v4, v45, v0
	v_lshrrev_b16 v1, 8, v1
	v_lshrrev_b32_e32 v3, 16, v3
	v_lshrrev_b32_e32 v2, 16, v2
	s_mov_b32 s12, s4
	v_lshrrev_b16 v4, 1, v4
	v_sub_nc_u16 v5, v214, v1
	v_sub_nc_u16 v6, v196, v3
	;; [unrolled: 1-line block ×3, first 2 shown]
	v_mov_b32_e32 v44, 0x75
	v_and_b32_e32 v4, 0x7f, v4
	v_lshrrev_b16 v5, 1, v5
	v_lshrrev_b16 v6, 1, v6
	v_add_nc_u16 v0, v4, v0
	v_and_b32_e32 v4, 0x7f, v5
	v_add_nc_u16 v3, v6, v3
	v_lshrrev_b16 v5, 1, v7
	v_lshrrev_b16 v0, 5, v0
	v_add_nc_u16 v1, v4, v1
	v_lshrrev_b16 v36, 5, v3
	v_add_nc_u16 v2, v5, v2
	v_and_b32_e32 v37, 7, v0
	v_lshrrev_b16 v0, 5, v1
	v_mul_lo_u16 v1, v36, 39
	v_lshrrev_b16 v38, 5, v2
	v_mul_lo_u16 v2, v37, 39
	v_and_b32_e32 v39, 7, v0
	v_sub_nc_u16 v40, v196, v1
	v_mul_lo_u16 v0, v38, 39
	v_sub_nc_u16 v1, v45, v2
	v_mul_lo_u16 v2, v39, 39
	v_lshlrev_b16 v3, 5, v40
	v_sub_nc_u16 v41, v197, v0
	v_and_b32_e32 v42, 0xff, v1
	v_sub_nc_u16 v0, v214, v2
	v_and_b32_e32 v1, 0xffff, v3
	v_lshlrev_b16 v2, 5, v41
	v_lshlrev_b32_e32 v3, 5, v42
	v_and_b32_e32 v43, 0xff, v0
	v_add_co_u32 v0, s1, s2, v1
	v_and_b32_e32 v2, 0xffff, v2
	v_add_co_ci_u32_e64 v1, null, s3, 0, s1
	v_lshlrev_b32_e32 v4, 5, v43
	s_clause 0x4
	global_load_dwordx4 v[140:143], v3, s[2:3] offset:592
	global_load_dwordx4 v[148:151], v3, s[2:3] offset:576
	global_load_dwordx4 v[132:135], v[0:1], off offset:592
	global_load_dwordx4 v[136:139], v[0:1], off offset:576
	global_load_dwordx4 v[144:147], v4, s[2:3] offset:576
	v_add_co_u32 v0, s1, s2, v2
	v_add_co_ci_u32_e64 v1, null, s3, 0, s1
	s_clause 0x2
	global_load_dwordx4 v[152:155], v4, s[2:3] offset:592
	global_load_dwordx4 v[50:53], v[0:1], off offset:576
	global_load_dwordx4 v[46:49], v[0:1], off offset:592
	s_waitcnt vmcnt(7) lgkmcnt(6)
	v_mul_f64 v[4:5], v[130:131], v[142:143]
	s_waitcnt vmcnt(6) lgkmcnt(4)
	v_mul_f64 v[0:1], v[166:167], v[150:151]
	v_mul_f64 v[2:3], v[164:165], v[150:151]
	v_mul_f64 v[6:7], v[128:129], v[142:143]
	s_waitcnt vmcnt(4) lgkmcnt(1)
	v_mul_f64 v[8:9], v[122:123], v[138:139]
	s_waitcnt lgkmcnt(0)
	v_mul_f64 v[10:11], v[126:127], v[134:135]
	s_waitcnt vmcnt(3)
	v_mul_f64 v[12:13], v[162:163], v[146:147]
	v_mul_f64 v[14:15], v[160:161], v[146:147]
	v_mul_f64 v[20:21], v[120:121], v[138:139]
	s_waitcnt vmcnt(2)
	v_mul_f64 v[16:17], v[118:119], v[154:155]
	s_waitcnt vmcnt(1)
	v_mul_f64 v[24:25], v[102:103], v[52:53]
	;; [unrolled: 2-line block ×3, first 2 shown]
	v_mul_f64 v[26:27], v[100:101], v[52:53]
	v_mul_f64 v[30:31], v[96:97], v[48:49]
	;; [unrolled: 1-line block ×4, first 2 shown]
	v_fma_f64 v[128:129], v[128:129], v[140:141], -v[4:5]
	v_fma_f64 v[32:33], v[164:165], v[148:149], -v[0:1]
	v_fma_f64 v[34:35], v[166:167], v[148:149], v[2:3]
	v_fma_f64 v[130:131], v[130:131], v[140:141], v[6:7]
	v_fma_f64 v[8:9], v[120:121], v[136:137], -v[8:9]
	v_fma_f64 v[120:121], v[124:125], v[132:133], -v[10:11]
	;; [unrolled: 1-line block ×3, first 2 shown]
	v_fma_f64 v[12:13], v[162:163], v[144:145], v[14:15]
	v_fma_f64 v[14:15], v[122:123], v[136:137], v[20:21]
	v_fma_f64 v[116:117], v[116:117], v[152:153], -v[16:17]
	v_fma_f64 v[2:3], v[100:101], v[50:51], -v[24:25]
	buffer_store_dword v50, off, s[48:51], 0 offset:380 ; 4-byte Folded Spill
	buffer_store_dword v51, off, s[48:51], 0 offset:384 ; 4-byte Folded Spill
	;; [unrolled: 1-line block ×4, first 2 shown]
	v_fma_f64 v[0:1], v[96:97], v[46:47], -v[28:29]
	buffer_store_dword v46, off, s[48:51], 0 offset:364 ; 4-byte Folded Spill
	buffer_store_dword v47, off, s[48:51], 0 offset:368 ; 4-byte Folded Spill
	;; [unrolled: 1-line block ×4, first 2 shown]
	v_fma_f64 v[118:119], v[118:119], v[152:153], v[18:19]
	v_fma_f64 v[122:123], v[126:127], v[132:133], v[22:23]
	v_add_f64 v[16:17], v[32:33], v[128:129]
	v_add_f64 v[96:97], v[108:109], v[32:33]
	;; [unrolled: 1-line block ×3, first 2 shown]
	v_add_f64 v[100:101], v[32:33], -v[128:129]
	v_add_f64 v[20:21], v[8:9], v[120:121]
	v_add_f64 v[32:33], v[112:113], v[8:9]
	;; [unrolled: 1-line block ×5, first 2 shown]
	v_add_f64 v[162:163], v[8:9], -v[120:121]
	v_add_f64 v[168:169], v[10:11], -v[116:117]
	v_add_f64 v[28:29], v[2:3], v[0:1]
	v_add_f64 v[24:25], v[12:13], v[118:119]
	v_add_f64 v[160:161], v[14:15], -v[122:123]
	v_add_f64 v[164:165], v[12:13], -v[118:119]
	v_fma_f64 v[108:109], v[16:17], -0.5, v[108:109]
	v_mov_b32_e32 v16, 4
	v_fma_f64 v[112:113], v[20:21], -0.5, v[112:113]
	v_fma_f64 v[166:167], v[22:23], -0.5, v[104:105]
	v_add_f64 v[21:22], v[32:33], v[120:121]
	v_mad_u16 v33, 0x75, v36, v40
	v_fma_f64 v[8:9], v[28:29], -0.5, v[92:93]
	v_mad_u16 v36, 0x75, v38, v41
	v_fma_f64 v[106:107], v[24:25], -0.5, v[106:107]
	v_lshlrev_b32_sdwa v33, v16, v33 dst_sel:DWORD dst_unused:UNUSED_PAD src0_sel:DWORD src1_sel:WORD_0
	buffer_store_dword v36, off, s[48:51], 0 offset:340 ; 4-byte Folded Spill
	s_waitcnt_vscnt null, 0x0
	s_barrier
	buffer_gl0_inv
	v_fma_f64 v[104:105], v[160:161], s[12:13], v[112:113]
	v_fma_f64 v[6:7], v[102:103], v[50:51], v[26:27]
	v_add_f64 v[26:27], v[14:15], v[122:123]
	v_fma_f64 v[4:5], v[98:99], v[46:47], v[30:31]
	v_add_f64 v[98:99], v[34:35], -v[130:131]
	v_add_f64 v[34:35], v[110:111], v[34:35]
	v_add_f64 v[102:103], v[114:115], v[14:15]
	v_fma_f64 v[110:111], v[18:19], -0.5, v[110:111]
	v_add_f64 v[14:15], v[2:3], -v[0:1]
	v_add_f64 v[17:18], v[96:97], v[128:129]
	v_fma_f64 v[170:171], v[26:27], -0.5, v[114:115]
	v_add_f64 v[30:31], v[6:7], v[4:5]
	v_add_f64 v[10:11], v[6:7], -v[4:5]
	v_add_f64 v[19:20], v[34:35], v[130:131]
	v_add_f64 v[23:24], v[102:103], v[122:123]
	v_fma_f64 v[96:97], v[98:99], s[12:13], v[108:109]
	v_fma_f64 v[114:115], v[168:169], s[4:5], v[106:107]
	v_add_f64 v[25:26], v[124:125], v[116:117]
	v_add_f64 v[27:28], v[126:127], v[118:119]
	v_mul_u32_u24_sdwa v34, v37, v44 dst_sel:DWORD dst_unused:UNUSED_PAD src0_sel:WORD_0 src1_sel:DWORD
	v_mul_u32_u24_sdwa v35, v39, v44 dst_sel:DWORD dst_unused:UNUSED_PAD src0_sel:WORD_0 src1_sel:DWORD
	v_add_lshl_u32 v36, v34, v42, 4
	v_add_lshl_u32 v34, v35, v43, 4
	v_fma_f64 v[102:103], v[162:163], s[12:13], v[170:171]
	v_fma_f64 v[12:13], v[30:31], -0.5, v[94:95]
	v_fma_f64 v[29:30], v[98:99], s[4:5], v[108:109]
	v_fma_f64 v[31:32], v[100:101], s[12:13], v[110:111]
	;; [unrolled: 1-line block ×9, first 2 shown]
	ds_write_b128 v36, v[17:20]
	ds_write_b128 v36, v[29:32] offset:624
	v_fma_f64 v[162:163], v[14:15], s[4:5], v[12:13]
	buffer_store_dword v36, off, s[48:51], 0 offset:352 ; 4-byte Folded Spill
	ds_write_b128 v36, v[96:99] offset:1248
	ds_write_b128 v34, v[25:28]
	ds_write_b128 v34, v[108:111] offset:624
	buffer_store_dword v34, off, s[48:51], 0 offset:348 ; 4-byte Folded Spill
	ds_write_b128 v34, v[112:115] offset:1248
	ds_write_b128 v33, v[21:24]
	ds_write_b128 v33, v[100:103] offset:624
	buffer_store_dword v33, off, s[48:51], 0 offset:344 ; 4-byte Folded Spill
	ds_write_b128 v33, v[104:107] offset:1248
	s_and_saveexec_b32 s1, vcc_lo
	s_cbranch_execz .LBB0_15
; %bb.14:
	v_add_f64 v[6:7], v[94:95], v[6:7]
	v_add_f64 v[17:18], v[92:93], v[2:3]
	v_mul_f64 v[10:11], v[10:11], s[4:5]
	v_mul_f64 v[14:15], v[14:15], s[4:5]
	v_add_f64 v[6:7], v[6:7], v[4:5]
	v_add_f64 v[4:5], v[17:18], v[0:1]
	;; [unrolled: 1-line block ×3, first 2 shown]
	buffer_load_dword v8, off, s[48:51], 0 offset:340 ; 4-byte Folded Reload
	v_add_f64 v[2:3], v[12:13], -v[14:15]
	s_waitcnt vmcnt(0)
	v_lshlrev_b32_sdwa v8, v16, v8 dst_sel:DWORD dst_unused:UNUSED_PAD src0_sel:DWORD src1_sel:WORD_0
	ds_write_b128 v8, v[4:7]
	ds_write_b128 v8, v[0:3] offset:624
	ds_write_b128 v8, v[160:163] offset:1248
.LBB0_15:
	s_or_b32 exec_lo, exec_lo, s1
	v_mad_u64_u32 v[0:1], null, 0xa0, v45, s[2:3]
	s_waitcnt lgkmcnt(0)
	s_waitcnt_vscnt null, 0x0
	s_barrier
	buffer_gl0_inv
	s_mov_b32 s22, 0xf8bb580b
	s_mov_b32 s20, 0xbb3a28a1
	;; [unrolled: 1-line block ×3, first 2 shown]
	s_clause 0x9
	global_load_dwordx4 v[92:95], v[0:1], off offset:1824
	global_load_dwordx4 v[112:115], v[0:1], off offset:1968
	;; [unrolled: 1-line block ×10, first 2 shown]
	ds_read_b128 v[164:167], v255 offset:1872
	ds_read_b128 v[168:171], v255 offset:18720
	ds_read_b128 v[28:31], v255
	ds_read_b128 v[4:7], v255 offset:3744
	ds_read_b128 v[8:11], v255 offset:5616
	;; [unrolled: 1-line block ×8, first 2 shown]
	s_mov_b32 s21, 0xbfe82f19
	s_mov_b32 s4, 0x8764f0ba
	;; [unrolled: 1-line block ×23, first 2 shown]
	s_waitcnt vmcnt(9) lgkmcnt(10)
	v_mul_f64 v[0:1], v[164:165], v[94:95]
	s_waitcnt vmcnt(8) lgkmcnt(9)
	v_mul_f64 v[2:3], v[168:169], v[114:115]
	v_mul_f64 v[176:177], v[166:167], v[94:95]
	;; [unrolled: 1-line block ×3, first 2 shown]
	s_waitcnt vmcnt(5) lgkmcnt(6)
	v_mul_f64 v[180:181], v[10:11], v[122:123]
	v_mul_f64 v[182:183], v[8:9], v[122:123]
	s_waitcnt vmcnt(4) lgkmcnt(1)
	v_mul_f64 v[186:187], v[26:27], v[118:119]
	v_mul_f64 v[188:189], v[24:25], v[118:119]
	s_waitcnt vmcnt(3)
	v_mul_f64 v[190:191], v[14:15], v[110:111]
	s_waitcnt vmcnt(2)
	;; [unrolled: 2-line block ×4, first 2 shown]
	v_mul_f64 v[204:205], v[34:35], v[98:99]
	v_mul_f64 v[194:195], v[12:13], v[110:111]
	;; [unrolled: 1-line block ×5, first 2 shown]
	v_fma_f64 v[166:167], v[166:167], v[92:93], v[0:1]
	v_fma_f64 v[0:1], v[170:171], v[112:113], v[2:3]
	v_fma_f64 v[164:165], v[164:165], v[92:93], -v[176:177]
	v_fma_f64 v[2:3], v[168:169], v[112:113], -v[178:179]
	v_mul_f64 v[168:169], v[6:7], v[130:131]
	v_mul_f64 v[170:171], v[4:5], v[130:131]
	s_waitcnt lgkmcnt(0)
	v_mul_f64 v[176:177], v[174:175], v[126:127]
	v_mul_f64 v[178:179], v[172:173], v[126:127]
	v_add_f64 v[216:217], v[30:31], v[166:167]
	v_add_f64 v[184:185], v[166:167], -v[0:1]
	v_add_f64 v[192:193], v[164:165], -v[2:3]
	v_fma_f64 v[168:169], v[4:5], v[128:129], -v[168:169]
	v_fma_f64 v[170:171], v[6:7], v[128:129], v[170:171]
	v_fma_f64 v[4:5], v[172:173], v[124:125], -v[176:177]
	v_fma_f64 v[6:7], v[174:175], v[124:125], v[178:179]
	v_fma_f64 v[172:173], v[8:9], v[120:121], -v[180:181]
	v_add_f64 v[174:175], v[164:165], v[2:3]
	v_fma_f64 v[178:179], v[10:11], v[120:121], v[182:183]
	v_fma_f64 v[8:9], v[24:25], v[116:117], -v[186:187]
	v_fma_f64 v[10:11], v[26:27], v[116:117], v[188:189]
	v_add_f64 v[188:189], v[166:167], v[0:1]
	v_fma_f64 v[24:25], v[12:13], v[108:109], -v[190:191]
	v_fma_f64 v[12:13], v[20:21], v[104:105], -v[196:197]
	;; [unrolled: 1-line block ×4, first 2 shown]
	v_fma_f64 v[26:27], v[14:15], v[108:109], v[194:195]
	v_fma_f64 v[14:15], v[22:23], v[104:105], v[198:199]
	;; [unrolled: 1-line block ×4, first 2 shown]
	v_mul_f64 v[176:177], v[184:185], s[22:23]
	v_mul_f64 v[180:181], v[184:185], s[14:15]
	;; [unrolled: 1-line block ×10, first 2 shown]
	v_add_f64 v[220:221], v[168:169], -v[4:5]
	v_add_f64 v[222:223], v[170:171], v[6:7]
	v_add_f64 v[224:225], v[178:179], -v[10:11]
	v_add_f64 v[226:227], v[172:173], v[8:9]
	v_add_f64 v[230:231], v[178:179], v[10:11]
	;; [unrolled: 1-line block ×6, first 2 shown]
	v_fma_f64 v[192:193], v[174:175], s[4:5], -v[176:177]
	v_fma_f64 v[176:177], v[174:175], s[4:5], v[176:177]
	v_fma_f64 v[206:207], v[188:189], s[4:5], -v[208:209]
	v_fma_f64 v[211:212], v[188:189], s[16:17], v[32:33]
	;; [unrolled: 2-line block ×5, first 2 shown]
	v_fma_f64 v[202:203], v[188:189], s[4:5], v[208:209]
	v_fma_f64 v[204:205], v[174:175], s[24:25], -v[184:185]
	v_fma_f64 v[174:175], v[174:175], s[24:25], v[184:185]
	v_fma_f64 v[184:185], v[188:189], s[2:3], v[190:191]
	v_fma_f64 v[190:191], v[188:189], s[2:3], -v[190:191]
	v_fma_f64 v[208:209], v[188:189], s[12:13], v[194:195]
	v_fma_f64 v[194:195], v[188:189], s[12:13], -v[194:195]
	v_fma_f64 v[32:33], v[188:189], s[16:17], -v[32:33]
	v_fma_f64 v[214:215], v[188:189], s[24:25], v[34:35]
	v_fma_f64 v[34:35], v[188:189], s[24:25], -v[34:35]
	v_add_f64 v[188:189], v[28:29], v[164:165]
	v_mul_f64 v[36:37], v[224:225], s[20:21]
	v_add_f64 v[164:165], v[28:29], v[192:193]
	v_add_f64 v[176:177], v[28:29], v[176:177]
	;; [unrolled: 1-line block ×4, first 2 shown]
	v_add_f64 v[211:212], v[170:171], -v[6:7]
	v_add_f64 v[196:197], v[28:29], v[196:197]
	v_add_f64 v[180:181], v[28:29], v[180:181]
	;; [unrolled: 1-line block ×17, first 2 shown]
	v_mul_f64 v[218:219], v[211:212], s[14:15]
	v_fma_f64 v[28:29], v[214:215], s[2:3], -v[218:219]
	v_add_f64 v[28:29], v[28:29], v[164:165]
	v_mul_f64 v[164:165], v[220:221], s[14:15]
	s_mov_b32 s15, 0x3fed1bb4
	v_mul_f64 v[38:39], v[224:225], s[14:15]
	v_fma_f64 v[30:31], v[222:223], s[2:3], v[164:165]
	v_fma_f64 v[90:91], v[222:223], s[2:3], -v[164:165]
	v_fma_f64 v[44:45], v[226:227], s[2:3], -v[38:39]
	v_fma_f64 v[38:39], v[226:227], s[2:3], v[38:39]
	v_add_f64 v[30:31], v[30:31], v[166:167]
	v_mul_f64 v[166:167], v[224:225], s[18:19]
	v_add_f64 v[90:91], v[90:91], v[192:193]
	v_fma_f64 v[228:229], v[226:227], s[12:13], -v[166:167]
	v_fma_f64 v[164:165], v[226:227], s[12:13], v[166:167]
	v_add_f64 v[28:29], v[228:229], v[28:29]
	v_add_f64 v[228:229], v[172:173], -v[8:9]
	v_mul_f64 v[232:233], v[228:229], s[18:19]
	v_mul_f64 v[46:47], v[228:229], s[30:31]
	v_fma_f64 v[234:235], v[230:231], s[12:13], v[232:233]
	v_add_f64 v[30:31], v[234:235], v[30:31]
	v_add_f64 v[234:235], v[26:27], -v[14:15]
	v_mul_f64 v[238:239], v[234:235], s[20:21]
	v_fma_f64 v[240:241], v[236:237], s[16:17], -v[238:239]
	v_add_f64 v[28:29], v[240:241], v[28:29]
	v_add_f64 v[240:241], v[24:25], -v[12:13]
	v_mul_f64 v[244:245], v[240:241], s[20:21]
	v_fma_f64 v[246:247], v[242:243], s[16:17], v[244:245]
	v_add_f64 v[30:31], v[246:247], v[30:31]
	v_add_f64 v[246:247], v[22:23], -v[18:19]
	v_mul_f64 v[250:251], v[246:247], s[26:27]
	v_fma_f64 v[252:253], v[248:249], s[24:25], -v[250:251]
	v_add_f64 v[28:29], v[252:253], v[28:29]
	v_add_f64 v[252:253], v[20:21], -v[16:17]
	v_mul_f64 v[86:87], v[252:253], s[26:27]
	v_fma_f64 v[88:89], v[84:85], s[24:25], v[86:87]
	v_fma_f64 v[86:87], v[84:85], s[24:25], -v[86:87]
	v_add_f64 v[30:31], v[88:89], v[30:31]
	v_fma_f64 v[88:89], v[214:215], s[2:3], v[218:219]
	v_mul_f64 v[218:219], v[220:221], s[28:29]
	v_add_f64 v[88:89], v[88:89], v[176:177]
	v_add_f64 v[88:89], v[164:165], v[88:89]
	v_fma_f64 v[164:165], v[230:231], s[12:13], -v[232:233]
	v_add_f64 v[90:91], v[164:165], v[90:91]
	v_fma_f64 v[164:165], v[236:237], s[16:17], v[238:239]
	v_add_f64 v[88:89], v[164:165], v[88:89]
	v_fma_f64 v[164:165], v[242:243], s[16:17], -v[244:245]
	v_fma_f64 v[244:245], v[222:223], s[4:5], v[218:219]
	v_fma_f64 v[218:219], v[222:223], s[4:5], -v[218:219]
	v_add_f64 v[90:91], v[164:165], v[90:91]
	v_fma_f64 v[164:165], v[248:249], s[24:25], v[250:251]
	v_mul_f64 v[250:251], v[224:225], s[22:23]
	v_add_f64 v[34:35], v[218:219], v[34:35]
	v_add_f64 v[166:167], v[86:87], v[90:91]
	;; [unrolled: 1-line block ×5, first 2 shown]
	v_mul_f64 v[90:91], v[211:212], s[20:21]
	v_mul_f64 v[168:169], v[211:212], s[30:31]
	;; [unrolled: 1-line block ×4, first 2 shown]
	v_fma_f64 v[40:41], v[226:227], s[4:5], -v[250:251]
	v_fma_f64 v[42:43], v[226:227], s[4:5], v[250:251]
	v_fma_f64 v[250:251], v[226:227], s[16:17], -v[36:37]
	v_fma_f64 v[36:37], v[226:227], s[16:17], v[36:37]
	v_add_f64 v[86:87], v[86:87], v[172:173]
	v_mul_f64 v[172:173], v[211:212], s[28:29]
	v_add_f64 v[88:89], v[88:89], v[178:179]
	v_fma_f64 v[176:177], v[214:215], s[16:17], -v[90:91]
	v_fma_f64 v[90:91], v[214:215], s[16:17], v[90:91]
	v_fma_f64 v[178:179], v[214:215], s[24:25], -v[168:169]
	v_fma_f64 v[168:169], v[214:215], s[24:25], v[168:169]
	;; [unrolled: 2-line block ×3, first 2 shown]
	v_mul_f64 v[211:212], v[220:221], s[20:21]
	v_fma_f64 v[238:239], v[222:223], s[12:13], v[216:217]
	v_fma_f64 v[216:217], v[222:223], s[12:13], -v[216:217]
	v_add_f64 v[24:25], v[86:87], v[24:25]
	v_fma_f64 v[192:193], v[214:215], s[4:5], -v[172:173]
	v_fma_f64 v[172:173], v[214:215], s[4:5], v[172:173]
	v_mul_f64 v[214:215], v[220:221], s[30:31]
	v_add_f64 v[26:27], v[88:89], v[26:27]
	v_mul_f64 v[86:87], v[228:229], s[22:23]
	v_mul_f64 v[88:89], v[228:229], s[20:21]
	v_add_f64 v[176:177], v[176:177], v[196:197]
	v_add_f64 v[178:179], v[178:179], v[198:199]
	v_fma_f64 v[220:221], v[222:223], s[16:17], v[211:212]
	v_fma_f64 v[211:212], v[222:223], s[16:17], -v[211:212]
	v_add_f64 v[32:33], v[216:217], v[32:33]
	v_add_f64 v[90:91], v[90:91], v[180:181]
	;; [unrolled: 1-line block ×7, first 2 shown]
	v_mul_f64 v[24:25], v[234:235], s[34:35]
	v_add_f64 v[172:173], v[172:173], v[174:175]
	v_fma_f64 v[232:233], v[222:223], s[24:25], v[214:215]
	v_fma_f64 v[214:215], v[222:223], s[24:25], -v[214:215]
	v_mul_f64 v[222:223], v[224:225], s[30:31]
	v_add_f64 v[22:23], v[26:27], v[22:23]
	v_fma_f64 v[48:49], v[230:231], s[4:5], v[86:87]
	v_fma_f64 v[50:51], v[230:231], s[4:5], -v[86:87]
	v_fma_f64 v[86:87], v[230:231], s[16:17], v[88:89]
	v_fma_f64 v[88:89], v[230:231], s[16:17], -v[88:89]
	v_mul_f64 v[26:27], v[234:235], s[22:23]
	v_add_f64 v[184:185], v[220:221], v[184:185]
	v_add_f64 v[180:181], v[211:212], v[190:191]
	;; [unrolled: 1-line block ×7, first 2 shown]
	v_mul_f64 v[192:193], v[246:247], s[18:19]
	v_add_f64 v[42:43], v[42:43], v[170:171]
	v_add_f64 v[16:17], v[20:21], v[16:17]
	v_mul_f64 v[20:21], v[240:241], s[34:35]
	v_add_f64 v[36:37], v[36:37], v[172:173]
	v_add_f64 v[196:197], v[232:233], v[202:203]
	;; [unrolled: 1-line block ×3, first 2 shown]
	v_fma_f64 v[224:225], v[226:227], s[24:25], -v[222:223]
	v_fma_f64 v[222:223], v[226:227], s[24:25], v[222:223]
	v_mul_f64 v[226:227], v[228:229], s[14:15]
	v_add_f64 v[18:19], v[22:23], v[18:19]
	v_fma_f64 v[228:229], v[230:231], s[24:25], v[46:47]
	v_fma_f64 v[46:47], v[230:231], s[24:25], -v[46:47]
	v_mul_f64 v[22:23], v[240:241], s[22:23]
	v_fma_f64 v[56:57], v[236:237], s[4:5], -v[26:27]
	v_fma_f64 v[26:27], v[236:237], s[4:5], v[26:27]
	v_add_f64 v[34:35], v[88:89], v[34:35]
	v_add_f64 v[32:33], v[50:51], v[32:33]
	v_mul_f64 v[88:89], v[252:253], s[14:15]
	v_mul_f64 v[194:195], v[246:247], s[14:15]
	v_add_f64 v[48:49], v[48:49], v[188:189]
	v_add_f64 v[168:169], v[250:251], v[186:187]
	;; [unrolled: 1-line block ×3, first 2 shown]
	v_fma_f64 v[202:203], v[248:249], s[12:13], -v[192:193]
	v_add_f64 v[12:13], v[16:17], v[12:13]
	v_mul_f64 v[16:17], v[246:247], s[28:29]
	v_fma_f64 v[192:193], v[248:249], s[12:13], v[192:193]
	v_add_f64 v[176:177], v[224:225], v[176:177]
	v_add_f64 v[90:91], v[222:223], v[90:91]
	v_fma_f64 v[52:53], v[230:231], s[2:3], v[226:227]
	v_fma_f64 v[54:55], v[230:231], s[2:3], -v[226:227]
	v_mul_f64 v[230:231], v[234:235], s[14:15]
	v_mul_f64 v[226:227], v[234:235], s[26:27]
	v_add_f64 v[14:15], v[18:19], v[14:15]
	v_fma_f64 v[234:235], v[236:237], s[12:13], -v[24:25]
	v_fma_f64 v[24:25], v[236:237], s[12:13], v[24:25]
	v_add_f64 v[184:185], v[228:229], v[184:185]
	v_fma_f64 v[64:65], v[242:243], s[4:5], v[22:23]
	v_mul_f64 v[18:19], v[246:247], s[20:21]
	v_fma_f64 v[22:23], v[242:243], s[4:5], -v[22:23]
	v_add_f64 v[46:47], v[46:47], v[180:181]
	v_fma_f64 v[178:179], v[84:85], s[2:3], v[88:89]
	v_add_f64 v[44:45], v[56:57], v[44:45]
	v_fma_f64 v[204:205], v[248:249], s[2:3], -v[194:195]
	v_add_f64 v[8:9], v[12:13], v[8:9]
	v_mul_f64 v[12:13], v[252:253], s[28:29]
	v_fma_f64 v[198:199], v[248:249], s[4:5], -v[16:17]
	v_fma_f64 v[16:17], v[248:249], s[4:5], v[16:17]
	v_add_f64 v[26:27], v[26:27], v[38:39]
	v_fma_f64 v[194:195], v[248:249], s[2:3], v[194:195]
	v_add_f64 v[52:53], v[52:53], v[196:197]
	v_add_f64 v[50:51], v[54:55], v[174:175]
	v_fma_f64 v[60:61], v[236:237], s[2:3], -v[230:231]
	v_fma_f64 v[62:63], v[236:237], s[2:3], v[230:231]
	v_mul_f64 v[230:231], v[240:241], s[26:27]
	v_fma_f64 v[58:59], v[236:237], s[24:25], -v[226:227]
	v_fma_f64 v[226:227], v[236:237], s[24:25], v[226:227]
	v_mul_f64 v[236:237], v[240:241], s[14:15]
	v_fma_f64 v[240:241], v[242:243], s[12:13], v[20:21]
	v_add_f64 v[10:11], v[14:15], v[10:11]
	v_mul_f64 v[14:15], v[252:253], s[20:21]
	v_mul_f64 v[54:55], v[252:253], s[18:19]
	v_fma_f64 v[20:21], v[242:243], s[12:13], -v[20:21]
	v_fma_f64 v[200:201], v[248:249], s[16:17], -v[18:19]
	v_fma_f64 v[18:19], v[248:249], s[16:17], v[18:19]
	v_add_f64 v[24:25], v[24:25], v[90:91]
	v_fma_f64 v[170:171], v[84:85], s[4:5], v[12:13]
	v_fma_f64 v[172:173], v[84:85], s[4:5], -v[12:13]
	v_add_f64 v[52:53], v[64:65], v[52:53]
	v_add_f64 v[50:51], v[22:23], v[50:51]
	;; [unrolled: 1-line block ×3, first 2 shown]
	v_fma_f64 v[66:67], v[242:243], s[24:25], v[230:231]
	v_fma_f64 v[230:231], v[242:243], s[24:25], -v[230:231]
	v_add_f64 v[38:39], v[58:59], v[40:41]
	v_fma_f64 v[68:69], v[242:243], s[2:3], v[236:237]
	v_fma_f64 v[70:71], v[242:243], s[2:3], -v[236:237]
	v_add_f64 v[42:43], v[226:227], v[42:43]
	v_fma_f64 v[12:13], v[84:85], s[16:17], v[14:15]
	v_fma_f64 v[14:15], v[84:85], s[16:17], -v[14:15]
	v_fma_f64 v[174:175], v[84:85], s[12:13], v[54:55]
	v_fma_f64 v[54:55], v[84:85], s[12:13], -v[54:55]
	v_fma_f64 v[84:85], v[84:85], s[2:3], -v[88:89]
	v_add_f64 v[88:89], v[234:235], v[176:177]
	v_add_f64 v[176:177], v[240:241], v[184:185]
	;; [unrolled: 1-line block ×28, first 2 shown]
	v_add_co_u32 v0, s1, 0x5000, v210
	v_add_co_ci_u32_e64 v1, s1, 0, v213, s1
	ds_write_b128 v255, v[28:31] offset:1872
	ds_write_b128 v255, v[4:7] offset:3744
	;; [unrolled: 1-line block ×10, first 2 shown]
	ds_write_b128 v255, v[172:175]
	s_waitcnt lgkmcnt(0)
	s_barrier
	buffer_gl0_inv
	global_load_dwordx4 v[2:5], v[0:1], off offset:112
	v_add_co_u32 v0, s1, 0x6800, v210
	v_add_co_ci_u32_e64 v1, s1, 0, v213, s1
	global_load_dwordx4 v[6:9], v[0:1], off offset:832
	v_add_co_u32 v0, s1, 0x8000, v210
	v_add_co_ci_u32_e64 v1, s1, 0, v213, s1
	;; [unrolled: 3-line block ×3, first 2 shown]
	v_add_co_u32 v18, s1, 0x7000, v210
	v_add_co_ci_u32_e64 v19, s1, 0, v213, s1
	global_load_dwordx4 v[14:17], v[0:1], off offset:1872
	v_add_co_u32 v22, s1, 0x8800, v210
	global_load_dwordx4 v[18:21], v[18:19], off offset:656
	v_add_co_ci_u32_e64 v23, s1, 0, v213, s1
	v_add_co_u32 v26, s1, 0x5800, v210
	v_add_co_ci_u32_e64 v27, s1, 0, v213, s1
	v_add_co_u32 v30, s1, 0x7800, v210
	;; [unrolled: 2-line block ×3, first 2 shown]
	v_add_co_ci_u32_e64 v35, s1, 0, v213, s1
	s_clause 0x3
	global_load_dwordx4 v[22:25], v[22:23], off offset:1376
	global_load_dwordx4 v[26:29], v[26:27], off offset:1808
	;; [unrolled: 1-line block ×4, first 2 shown]
	ds_read_b128 v[176:179], v255
	ds_read_b128 v[180:183], v255 offset:6864
	ds_read_b128 v[184:187], v255 offset:1872
	;; [unrolled: 1-line block ×5, first 2 shown]
	s_waitcnt vmcnt(8) lgkmcnt(5)
	v_mul_f64 v[34:35], v[178:179], v[4:5]
	v_mul_f64 v[4:5], v[176:177], v[4:5]
	s_waitcnt vmcnt(7) lgkmcnt(4)
	v_mul_f64 v[36:37], v[182:183], v[8:9]
	v_mul_f64 v[8:9], v[180:181], v[8:9]
	v_fma_f64 v[176:177], v[176:177], v[2:3], -v[34:35]
	s_waitcnt vmcnt(6) lgkmcnt(2)
	v_mul_f64 v[34:35], v[190:191], v[12:13]
	v_fma_f64 v[178:179], v[178:179], v[2:3], v[4:5]
	ds_read_b128 v[2:5], v255 offset:8736
	v_mul_f64 v[12:13], v[188:189], v[12:13]
	v_fma_f64 v[180:181], v[180:181], v[6:7], -v[36:37]
	s_waitcnt vmcnt(5)
	v_mul_f64 v[36:37], v[186:187], v[16:17]
	v_mul_f64 v[16:17], v[184:185], v[16:17]
	v_fma_f64 v[182:183], v[182:183], v[6:7], v[8:9]
	ds_read_b128 v[6:9], v255 offset:10608
	v_fma_f64 v[188:189], v[188:189], v[10:11], -v[34:35]
	s_waitcnt vmcnt(4) lgkmcnt(1)
	v_mul_f64 v[34:35], v[4:5], v[20:21]
	v_mul_f64 v[20:21], v[2:3], v[20:21]
	v_fma_f64 v[190:191], v[190:191], v[10:11], v[12:13]
	ds_read_b128 v[10:13], v255 offset:17472
	v_fma_f64 v[184:185], v[184:185], v[14:15], -v[36:37]
	v_fma_f64 v[186:187], v[186:187], v[14:15], v[16:17]
	s_waitcnt vmcnt(3)
	v_mul_f64 v[14:15], v[198:199], v[24:25]
	v_mul_f64 v[16:17], v[196:197], v[24:25]
	s_waitcnt vmcnt(2)
	v_mul_f64 v[24:25], v[194:195], v[28:29]
	v_mul_f64 v[28:29], v[192:193], v[28:29]
	v_fma_f64 v[2:3], v[2:3], v[18:19], -v[34:35]
	s_waitcnt vmcnt(1) lgkmcnt(1)
	v_mul_f64 v[34:35], v[8:9], v[32:33]
	v_mul_f64 v[32:33], v[6:7], v[32:33]
	s_waitcnt vmcnt(0) lgkmcnt(0)
	v_mul_f64 v[36:37], v[12:13], v[174:175]
	v_mul_f64 v[38:39], v[10:11], v[174:175]
	v_fma_f64 v[4:5], v[4:5], v[18:19], v[20:21]
	v_fma_f64 v[14:15], v[196:197], v[22:23], -v[14:15]
	v_fma_f64 v[16:17], v[198:199], v[22:23], v[16:17]
	v_fma_f64 v[18:19], v[192:193], v[26:27], -v[24:25]
	;; [unrolled: 2-line block ×4, first 2 shown]
	v_fma_f64 v[12:13], v[12:13], v[172:173], v[38:39]
	ds_write_b128 v255, v[176:179]
	ds_write_b128 v255, v[180:183] offset:6864
	ds_write_b128 v255, v[188:191] offset:13728
	;; [unrolled: 1-line block ×8, first 2 shown]
	s_and_saveexec_b32 s2, vcc_lo
	s_cbranch_execz .LBB0_17
; %bb.16:
	v_add_co_u32 v2, s1, 0x1000, v0
	v_add_co_ci_u32_e64 v3, s1, 0, v1, s1
	v_add_co_u32 v4, s1, 0x3000, v0
	v_add_co_ci_u32_e64 v5, s1, 0, v1, s1
	;; [unrolled: 2-line block ×3, first 2 shown]
	s_clause 0x2
	global_load_dwordx4 v[0:3], v[2:3], off offset:1520
	global_load_dwordx4 v[4:7], v[4:5], off offset:192
	;; [unrolled: 1-line block ×3, first 2 shown]
	ds_read_b128 v[12:15], v255 offset:5616
	ds_read_b128 v[16:19], v255 offset:12480
	ds_read_b128 v[20:23], v255 offset:19344
	s_waitcnt vmcnt(2) lgkmcnt(2)
	v_mul_f64 v[24:25], v[14:15], v[2:3]
	v_mul_f64 v[2:3], v[12:13], v[2:3]
	s_waitcnt vmcnt(1) lgkmcnt(1)
	v_mul_f64 v[26:27], v[18:19], v[6:7]
	v_mul_f64 v[6:7], v[16:17], v[6:7]
	;; [unrolled: 3-line block ×3, first 2 shown]
	v_fma_f64 v[10:11], v[12:13], v[0:1], -v[24:25]
	v_fma_f64 v[12:13], v[14:15], v[0:1], v[2:3]
	v_fma_f64 v[0:1], v[16:17], v[4:5], -v[26:27]
	v_fma_f64 v[2:3], v[18:19], v[4:5], v[6:7]
	;; [unrolled: 2-line block ×3, first 2 shown]
	ds_write_b128 v255, v[10:13] offset:5616
	ds_write_b128 v255, v[0:3] offset:12480
	;; [unrolled: 1-line block ×3, first 2 shown]
.LBB0_17:
	s_or_b32 exec_lo, exec_lo, s2
	s_waitcnt lgkmcnt(0)
	s_barrier
	buffer_gl0_inv
	ds_read_b128 v[192:195], v255
	ds_read_b128 v[188:191], v255 offset:1872
	ds_read_b128 v[180:183], v255 offset:13728
	;; [unrolled: 1-line block ×8, first 2 shown]
	s_and_saveexec_b32 s1, vcc_lo
	s_cbranch_execz .LBB0_19
; %bb.18:
	ds_read_b128 v[168:171], v255 offset:5616
	ds_read_b128 v[164:167], v255 offset:12480
	;; [unrolled: 1-line block ×3, first 2 shown]
.LBB0_19:
	s_or_b32 exec_lo, exec_lo, s1
	s_waitcnt lgkmcnt(4)
	v_add_f64 v[0:1], v[204:205], v[180:181]
	v_add_f64 v[12:13], v[206:207], -v[182:183]
	s_mov_b32 s2, 0xe8584caa
	s_mov_b32 s3, 0xbfebb67a
	;; [unrolled: 1-line block ×4, first 2 shown]
	s_waitcnt lgkmcnt(2)
	v_add_f64 v[4:5], v[200:201], v[176:177]
	v_add_f64 v[8:9], v[192:193], v[204:205]
	;; [unrolled: 1-line block ×3, first 2 shown]
	v_add_f64 v[30:31], v[200:201], -v[176:177]
	s_waitcnt lgkmcnt(0)
	s_barrier
	buffer_gl0_inv
	v_add_f64 v[2:3], v[206:207], v[182:183]
	v_add_f64 v[18:19], v[194:195], v[206:207]
	v_add_f64 v[20:21], v[204:205], -v[180:181]
	v_add_f64 v[16:17], v[164:165], v[160:161]
	v_add_f64 v[22:23], v[166:167], v[162:163]
	;; [unrolled: 1-line block ×3, first 2 shown]
	v_add_f64 v[42:43], v[166:167], -v[162:163]
	v_add_f64 v[44:45], v[170:171], v[166:167]
	v_add_f64 v[46:47], v[164:165], -v[160:161]
	v_fma_f64 v[0:1], v[0:1], -0.5, v[192:193]
	v_add_f64 v[6:7], v[202:203], v[178:179]
	v_add_f64 v[26:27], v[202:203], -v[178:179]
	v_add_f64 v[28:29], v[190:191], v[202:203]
	v_add_f64 v[10:11], v[196:197], v[172:173]
	v_add_f64 v[14:15], v[198:199], v[174:175]
	v_fma_f64 v[4:5], v[4:5], -0.5, v[188:189]
	v_add_f64 v[164:165], v[8:9], v[180:181]
	v_add_f64 v[188:189], v[24:25], v[176:177]
	;; [unrolled: 1-line block ×4, first 2 shown]
	v_add_f64 v[34:35], v[198:199], -v[174:175]
	v_add_f64 v[38:39], v[196:197], -v[172:173]
	v_fma_f64 v[2:3], v[2:3], -0.5, v[194:195]
	v_add_f64 v[166:167], v[18:19], v[182:183]
	v_fma_f64 v[16:17], v[16:17], -0.5, v[168:169]
	v_fma_f64 v[8:9], v[22:23], -0.5, v[170:171]
	v_add_f64 v[160:161], v[40:41], v[160:161]
	v_add_f64 v[162:163], v[44:45], v[162:163]
	v_fma_f64 v[200:201], v[12:13], s[2:3], v[0:1]
	v_fma_f64 v[192:193], v[12:13], s[4:5], v[0:1]
	buffer_load_dword v0, off, s[48:51], 0 offset:228 ; 4-byte Folded Reload
	v_fma_f64 v[6:7], v[6:7], -0.5, v[190:191]
	v_add_f64 v[190:191], v[28:29], v[178:179]
	v_fma_f64 v[10:11], v[10:11], -0.5, v[184:185]
	v_fma_f64 v[14:15], v[14:15], -0.5, v[186:187]
	v_fma_f64 v[184:185], v[26:27], s[2:3], v[4:5]
	v_fma_f64 v[176:177], v[26:27], s[4:5], v[4:5]
	v_add_f64 v[172:173], v[32:33], v[172:173]
	v_add_f64 v[174:175], v[36:37], v[174:175]
	v_fma_f64 v[202:203], v[20:21], s[4:5], v[2:3]
	v_fma_f64 v[194:195], v[20:21], s[2:3], v[2:3]
	s_waitcnt vmcnt(0)
	ds_write_b128 v0, v[164:167]
	ds_write_b128 v0, v[200:203] offset:16
	ds_write_b128 v0, v[192:195] offset:32
	buffer_load_dword v0, off, s[48:51], 0 offset:252 ; 4-byte Folded Reload
	v_fma_f64 v[186:187], v[30:31], s[4:5], v[6:7]
	v_fma_f64 v[178:179], v[30:31], s[2:3], v[6:7]
	;; [unrolled: 1-line block ×10, first 2 shown]
	s_waitcnt vmcnt(0)
	ds_write_b128 v0, v[188:191]
	ds_write_b128 v0, v[184:187] offset:16
	ds_write_b128 v0, v[176:179] offset:32
	buffer_load_dword v0, off, s[48:51], 0 offset:204 ; 4-byte Folded Reload
	s_waitcnt vmcnt(0)
	ds_write_b128 v0, v[172:175]
	ds_write_b128 v0, v[168:171] offset:16
	ds_write_b128 v0, v[180:183] offset:32
	s_and_saveexec_b32 s1, vcc_lo
	s_cbranch_execz .LBB0_21
; %bb.20:
	buffer_load_dword v0, off, s[48:51], 0 offset:356 ; 4-byte Folded Reload
	s_waitcnt vmcnt(0)
	v_lshlrev_b32_e32 v0, 4, v0
	ds_write_b128 v0, v[160:163]
	ds_write_b128 v0, v[196:199] offset:16
	ds_write_b128 v0, v[204:207] offset:32
.LBB0_21:
	s_or_b32 exec_lo, exec_lo, s1
	s_waitcnt lgkmcnt(0)
	s_barrier
	buffer_gl0_inv
	s_and_saveexec_b32 s1, s0
	s_cbranch_execz .LBB0_23
; %bb.22:
	ds_read_b128 v[164:167], v255
	ds_read_b128 v[200:203], v255 offset:1584
	ds_read_b128 v[192:195], v255 offset:3168
	;; [unrolled: 1-line block ×12, first 2 shown]
.LBB0_23:
	s_or_b32 exec_lo, exec_lo, s1
	s_clause 0xf
	buffer_load_dword v16, off, s[48:51], 0 offset:172
	buffer_load_dword v17, off, s[48:51], 0 offset:176
	;; [unrolled: 1-line block ×16, first 2 shown]
	s_mov_b32 s2, 0x42a4c3d2
	s_mov_b32 s3, 0xbfea55e2
	;; [unrolled: 1-line block ×33, first 2 shown]
	s_waitcnt vmcnt(12) lgkmcnt(11)
	v_mul_f64 v[0:1], v[18:19], v[200:201]
	s_waitcnt vmcnt(8) lgkmcnt(0)
	v_mul_f64 v[2:3], v[28:29], v[156:157]
	v_mul_f64 v[10:11], v[28:29], v[158:159]
	;; [unrolled: 1-line block ×3, first 2 shown]
	s_waitcnt vmcnt(4)
	v_mul_f64 v[6:7], v[24:25], v[192:193]
	s_clause 0x3
	buffer_load_dword v18, off, s[48:51], 0 offset:212
	buffer_load_dword v19, off, s[48:51], 0 offset:216
	;; [unrolled: 1-line block ×4, first 2 shown]
	v_mul_f64 v[12:13], v[24:25], v[194:195]
	s_waitcnt vmcnt(4)
	v_mul_f64 v[8:9], v[32:33], v[204:205]
	v_mul_f64 v[14:15], v[32:33], v[206:207]
	v_fma_f64 v[202:203], v[16:17], v[202:203], -v[0:1]
	v_fma_f64 v[28:29], v[26:27], v[158:159], -v[2:3]
	v_fma_f64 v[54:55], v[26:27], v[156:157], v[10:11]
	s_clause 0x3
	buffer_load_dword v24, off, s[48:51], 0 offset:308
	buffer_load_dword v25, off, s[48:51], 0 offset:312
	;; [unrolled: 1-line block ×4, first 2 shown]
	v_fma_f64 v[158:159], v[22:23], v[194:195], -v[6:7]
	v_mul_f64 v[2:3], v[74:75], v[196:197]
	v_fma_f64 v[200:201], v[16:17], v[200:201], v[4:5]
	v_fma_f64 v[58:59], v[30:31], v[206:207], -v[8:9]
	v_mul_f64 v[8:9], v[74:75], v[198:199]
	v_fma_f64 v[192:193], v[22:23], v[192:193], v[12:13]
	v_fma_f64 v[62:63], v[30:31], v[204:205], v[14:15]
	v_mul_f64 v[12:13], v[78:79], v[180:181]
	v_mul_f64 v[14:15], v[82:83], v[162:163]
	v_add_f64 v[194:195], v[202:203], -v[28:29]
	buffer_store_dword v28, off, s[48:51], 0 offset:172 ; 4-byte Folded Spill
	buffer_store_dword v29, off, s[48:51], 0 offset:176 ; 4-byte Folded Spill
	v_fma_f64 v[56:57], v[72:73], v[198:199], -v[2:3]
	v_add_f64 v[215:216], v[200:201], v[54:55]
	v_add_f64 v[74:75], v[158:159], -v[58:59]
	v_fma_f64 v[217:218], v[72:73], v[196:197], v[8:9]
	v_add_f64 v[233:234], v[200:201], -v[54:55]
	v_add_f64 v[156:157], v[192:193], v[62:63]
	v_fma_f64 v[243:244], v[76:77], v[182:183], -v[12:13]
	v_mul_f64 v[229:230], v[194:195], s[2:3]
	v_mul_f64 v[30:31], v[194:195], s[28:29]
	;; [unrolled: 1-line block ×6, first 2 shown]
	v_fma_f64 v[8:9], v[156:157], s[4:5], -v[86:87]
	s_waitcnt vmcnt(4)
	v_mul_f64 v[0:1], v[20:21], v[188:189]
	v_mul_f64 v[4:5], v[20:21], v[190:191]
	s_waitcnt vmcnt(0)
	v_mul_f64 v[6:7], v[26:27], v[184:185]
	v_mul_f64 v[2:3], v[26:27], v[186:187]
	v_fma_f64 v[190:191], v[18:19], v[190:191], -v[0:1]
	v_fma_f64 v[198:199], v[18:19], v[188:189], v[4:5]
	v_mul_f64 v[0:1], v[82:83], v[160:161]
	v_fma_f64 v[4:5], v[215:216], s[16:17], -v[229:230]
	v_add_f64 v[82:83], v[158:159], v[58:59]
	v_fma_f64 v[160:161], v[80:81], v[160:161], v[14:15]
	v_add_f64 v[211:212], v[202:203], v[28:29]
	s_clause 0xb
	buffer_load_dword v26, off, s[48:51], 0 offset:324
	buffer_load_dword v27, off, s[48:51], 0 offset:328
	;; [unrolled: 1-line block ×12, first 2 shown]
	v_fma_f64 v[188:189], v[24:25], v[186:187], -v[6:7]
	v_add_f64 v[72:73], v[190:191], -v[56:57]
	v_fma_f64 v[241:242], v[80:81], v[162:163], -v[0:1]
	v_add_f64 v[4:5], v[164:165], v[4:5]
	v_mul_f64 v[6:7], v[78:79], v[182:183]
	v_fma_f64 v[184:185], v[24:25], v[184:185], v[2:3]
	v_add_f64 v[80:81], v[190:191], v[56:57]
	v_add_f64 v[78:79], v[198:199], v[217:218]
	v_mul_f64 v[60:61], v[82:83], s[4:5]
	v_add_f64 v[204:205], v[198:199], -v[217:218]
	v_mul_f64 v[206:207], v[82:83], s[18:19]
	s_waitcnt vmcnt(0)
	s_waitcnt_vscnt null, 0x0
	s_barrier
	buffer_gl0_inv
	v_mul_f64 v[245:246], v[211:212], s[16:17]
	v_mul_f64 v[32:33], v[211:212], s[26:27]
	;; [unrolled: 1-line block ×4, first 2 shown]
	v_add_f64 v[70:71], v[188:189], -v[241:242]
	v_add_f64 v[4:5], v[8:9], v[4:5]
	v_fma_f64 v[64:65], v[76:77], v[180:181], v[6:7]
	v_add_f64 v[76:77], v[188:189], v[241:242]
	v_add_f64 v[68:69], v[184:185], v[160:161]
	v_mul_f64 v[162:163], v[80:81], s[18:19]
	v_mul_f64 v[253:254], v[80:81], s[4:5]
	;; [unrolled: 1-line block ×3, first 2 shown]
	v_fma_f64 v[2:3], v[233:234], s[2:3], v[245:246]
	v_fma_f64 v[6:7], v[78:79], s[18:19], -v[88:89]
	v_mul_f64 v[90:91], v[70:71], s[22:23]
	v_mul_f64 v[196:197], v[70:71], s[42:43]
	;; [unrolled: 1-line block ×3, first 2 shown]
	v_add_f64 v[2:3], v[166:167], v[2:3]
	v_add_f64 v[4:5], v[6:7], v[4:5]
	v_fma_f64 v[6:7], v[68:69], s[20:21], -v[90:91]
	v_add_f64 v[4:5], v[6:7], v[4:5]
	v_mul_f64 v[10:11], v[28:29], v[176:177]
	v_mul_f64 v[0:1], v[28:29], v[178:179]
	;; [unrolled: 1-line block ×6, first 2 shown]
	v_fma_f64 v[66:67], v[26:27], v[178:179], -v[10:11]
	v_add_f64 v[178:179], v[192:193], -v[62:63]
	v_mul_f64 v[10:11], v[22:23], v[174:175]
	v_fma_f64 v[22:23], v[26:27], v[176:177], v[0:1]
	v_fma_f64 v[247:248], v[16:17], v[170:171], -v[8:9]
	v_fma_f64 v[249:250], v[16:17], v[168:169], v[14:15]
	v_mul_f64 v[176:177], v[76:77], s[30:31]
	v_mul_f64 v[26:27], v[82:83], s[20:21]
	;; [unrolled: 1-line block ×3, first 2 shown]
	v_add_f64 v[50:51], v[66:67], -v[243:244]
	v_fma_f64 v[0:1], v[178:179], s[12:13], v[60:61]
	v_fma_f64 v[18:19], v[20:21], v[172:173], v[10:11]
	v_fma_f64 v[20:21], v[20:21], v[174:175], -v[12:13]
	v_add_f64 v[174:175], v[184:185], -v[160:161]
	v_add_f64 v[48:49], v[22:23], v[64:65]
	v_add_f64 v[172:173], v[66:67], v[243:244]
	v_add_f64 v[219:220], v[22:23], -v[64:65]
	v_mul_f64 v[12:13], v[76:77], s[26:27]
	v_mul_f64 v[52:53], v[50:51], s[24:25]
	v_add_f64 v[0:1], v[0:1], v[2:3]
	v_fma_f64 v[2:3], v[204:205], s[14:15], v[162:163]
	v_add_f64 v[223:224], v[20:21], -v[247:248]
	v_fma_f64 v[8:9], v[174:175], s[22:23], v[225:226]
	v_add_f64 v[168:169], v[18:19], v[249:250]
	v_mul_f64 v[231:232], v[172:173], s[26:27]
	v_add_f64 v[170:171], v[20:21], v[247:248]
	v_add_f64 v[227:228], v[18:19], -v[249:250]
	v_mul_f64 v[239:240], v[50:51], s[2:3]
	v_mul_f64 v[182:183], v[50:51], s[40:41]
	v_add_f64 v[0:1], v[2:3], v[0:1]
	v_fma_f64 v[2:3], v[48:49], s[26:27], -v[52:53]
	v_mul_f64 v[180:181], v[223:224], s[42:43]
	v_fma_f64 v[6:7], v[219:220], s[24:25], v[231:232]
	v_mul_f64 v[221:222], v[170:171], s[30:31]
	v_mul_f64 v[208:209], v[170:171], s[20:21]
	v_fma_f64 v[24:25], v[48:49], s[18:19], -v[182:183]
	v_add_f64 v[0:1], v[8:9], v[0:1]
	v_add_f64 v[2:3], v[2:3], v[4:5]
	v_fma_f64 v[4:5], v[168:169], s[30:31], -v[180:181]
	v_mul_f64 v[8:9], v[72:73], s[38:39]
	v_add_f64 v[0:1], v[6:7], v[0:1]
	v_fma_f64 v[6:7], v[48:49], s[16:17], -v[239:240]
	v_add_f64 v[36:37], v[4:5], v[2:3]
	v_fma_f64 v[2:3], v[227:228], s[42:43], v[221:222]
	v_fma_f64 v[4:5], v[178:179], s[14:15], v[206:207]
	v_add_f64 v[38:39], v[2:3], v[0:1]
	v_fma_f64 v[0:1], v[215:216], s[26:27], -v[30:31]
	v_fma_f64 v[2:3], v[156:157], s[18:19], -v[251:252]
	v_add_f64 v[0:1], v[164:165], v[0:1]
	v_add_f64 v[0:1], v[2:3], v[0:1]
	v_fma_f64 v[2:3], v[233:234], s[28:29], v[32:33]
	v_add_f64 v[2:3], v[166:167], v[2:3]
	v_add_f64 v[2:3], v[4:5], v[2:3]
	v_fma_f64 v[4:5], v[78:79], s[4:5], -v[8:9]
	v_add_f64 v[0:1], v[4:5], v[0:1]
	v_fma_f64 v[4:5], v[204:205], s[38:39], v[253:254]
	v_add_f64 v[2:3], v[4:5], v[2:3]
	v_fma_f64 v[4:5], v[68:69], s[30:31], -v[196:197]
	v_add_f64 v[4:5], v[4:5], v[0:1]
	v_fma_f64 v[0:1], v[174:175], s[42:43], v[176:177]
	v_add_f64 v[4:5], v[6:7], v[4:5]
	v_mul_f64 v[6:7], v[172:173], s[16:17]
	v_add_f64 v[2:3], v[0:1], v[2:3]
	v_mul_f64 v[0:1], v[223:224], s[34:35]
	v_fma_f64 v[14:15], v[219:220], s[2:3], v[6:7]
	v_add_f64 v[2:3], v[14:15], v[2:3]
	v_fma_f64 v[14:15], v[168:169], s[20:21], -v[0:1]
	v_add_f64 v[40:41], v[14:15], v[4:5]
	v_fma_f64 v[4:5], v[227:228], s[34:35], v[208:209]
	v_fma_f64 v[14:15], v[178:179], s[22:23], v[26:27]
	v_add_f64 v[42:43], v[4:5], v[2:3]
	v_fma_f64 v[2:3], v[215:216], s[4:5], -v[34:35]
	v_fma_f64 v[4:5], v[156:157], s[20:21], -v[237:238]
	v_add_f64 v[2:3], v[164:165], v[2:3]
	v_add_f64 v[2:3], v[4:5], v[2:3]
	v_fma_f64 v[4:5], v[233:234], s[12:13], v[186:187]
	v_add_f64 v[4:5], v[166:167], v[4:5]
	v_add_f64 v[4:5], v[14:15], v[4:5]
	v_fma_f64 v[14:15], v[78:79], s[30:31], -v[235:236]
	v_add_f64 v[2:3], v[14:15], v[2:3]
	v_fma_f64 v[14:15], v[204:205], s[42:43], v[28:29]
	v_add_f64 v[4:5], v[14:15], v[4:5]
	v_fma_f64 v[14:15], v[68:69], s[26:27], -v[16:17]
	v_add_f64 v[2:3], v[14:15], v[2:3]
	v_fma_f64 v[14:15], v[174:175], s[28:29], v[12:13]
	v_add_f64 v[44:45], v[24:25], v[2:3]
	v_mul_f64 v[24:25], v[172:173], s[18:19]
	v_add_f64 v[4:5], v[14:15], v[4:5]
	v_fma_f64 v[2:3], v[219:220], s[40:41], v[24:25]
	v_add_f64 v[46:47], v[2:3], v[4:5]
	v_mul_f64 v[2:3], v[223:224], s[36:37]
	v_fma_f64 v[4:5], v[168:169], s[16:17], -v[2:3]
	v_add_f64 v[44:45], v[4:5], v[44:45]
	v_mul_f64 v[4:5], v[170:171], s[16:17]
	v_fma_f64 v[84:85], v[227:228], s[36:37], v[4:5]
	v_add_f64 v[46:47], v[84:85], v[46:47]
	s_and_saveexec_b32 s1, s0
	s_cbranch_execz .LBB0_25
; %bb.24:
	buffer_store_dword v56, off, s[48:51], 0 offset:188 ; 4-byte Folded Spill
	buffer_store_dword v57, off, s[48:51], 0 offset:192 ; 4-byte Folded Spill
	;; [unrolled: 1-line block ×4, first 2 shown]
	v_mul_f64 v[86:87], v[233:234], s[28:29]
	v_mov_b32_e32 v10, v243
	v_mov_b32_e32 v11, v244
	;; [unrolled: 1-line block ×4, first 2 shown]
	v_mul_f64 v[88:89], v[215:216], s[26:27]
	v_mov_b32_e32 v57, v7
	v_mov_b32_e32 v56, v6
	;; [unrolled: 1-line block ×8, first 2 shown]
	v_mul_f64 v[202:203], v[227:228], s[42:43]
	v_mul_f64 v[84:85], v[233:234], s[12:13]
	v_mov_b32_e32 v14, v241
	v_mov_b32_e32 v15, v242
	;; [unrolled: 1-line block ×3, first 2 shown]
	buffer_store_dword v58, off, s[48:51], 0 offset:212 ; 4-byte Folded Spill
	buffer_store_dword v59, off, s[48:51], 0 offset:216 ; 4-byte Folded Spill
	;; [unrolled: 1-line block ×4, first 2 shown]
	v_mov_b32_e32 v241, v90
	v_add_f64 v[32:33], v[32:33], -v[86:87]
	v_mul_f64 v[86:87], v[215:216], s[4:5]
	v_mul_f64 v[90:91], v[178:179], s[42:43]
	v_mul_f64 v[58:59], v[174:175], s[42:43]
	buffer_store_dword v202, off, s[48:51], 0 offset:252 ; 4-byte Folded Spill
	buffer_store_dword v203, off, s[48:51], 0 offset:256 ; 4-byte Folded Spill
	;; [unrolled: 1-line block ×4, first 2 shown]
	v_add_f64 v[30:31], v[88:89], v[30:31]
	v_mul_f64 v[88:89], v[215:216], s[16:17]
	v_add_f64 v[84:85], v[186:187], -v[84:85]
	v_mul_f64 v[186:187], v[74:75], s[42:43]
	v_mul_f64 v[180:181], v[50:51], s[42:43]
	buffer_store_dword v54, off, s[48:51], 0 offset:204 ; 4-byte Folded Spill
	buffer_store_dword v55, off, s[48:51], 0 offset:208 ; 4-byte Folded Spill
	;; [unrolled: 1-line block ×4, first 2 shown]
	v_mov_b32_e32 v0, v162
	v_add_f64 v[34:35], v[86:87], v[34:35]
	v_mul_f64 v[86:87], v[233:234], s[2:3]
	v_mul_f64 v[54:55], v[233:234], s[14:15]
	v_mov_b32_e32 v1, v163
	v_mul_f64 v[162:163], v[233:234], s[34:35]
	buffer_store_dword v62, off, s[48:51], 0 offset:228 ; 4-byte Folded Spill
	buffer_store_dword v63, off, s[48:51], 0 offset:232 ; 4-byte Folded Spill
	;; [unrolled: 1-line block ×10, first 2 shown]
	v_mov_b32_e32 v4, v225
	v_mov_b32_e32 v5, v226
	v_mul_f64 v[225:226], v[194:195], s[34:35]
	buffer_store_dword v208, off, s[48:51], 0 offset:324 ; 4-byte Folded Spill
	buffer_store_dword v209, off, s[48:51], 0 offset:328 ; 4-byte Folded Spill
	v_mov_b32_e32 v208, v231
	v_mov_b32_e32 v2, v239
	v_add_f64 v[88:89], v[88:89], v[229:230]
	v_mul_f64 v[229:230], v[204:205], s[42:43]
	v_mov_b32_e32 v209, v232
	v_mov_b32_e32 v3, v240
	v_add_f64 v[200:201], v[164:165], v[200:201]
	v_add_f64 v[30:31], v[164:165], v[30:31]
	;; [unrolled: 1-line block ×4, first 2 shown]
	v_add_f64 v[86:87], v[245:246], -v[86:87]
	v_mul_f64 v[245:246], v[219:220], s[42:43]
	s_mov_b32 s43, 0xbfddbe06
	v_fma_f64 v[62:63], v[211:212], s[18:19], v[54:55]
	v_mul_f64 v[233:234], v[233:234], s[42:43]
	v_fma_f64 v[54:55], v[211:212], s[18:19], -v[54:55]
	v_fma_f64 v[217:218], v[211:212], s[20:21], v[162:163]
	v_fma_f64 v[162:163], v[211:212], s[20:21], -v[162:163]
	v_add_f64 v[84:85], v[166:167], v[84:85]
	v_add_f64 v[32:33], v[166:167], v[32:33]
	v_fma_f64 v[52:53], v[215:216], s[20:21], -v[225:226]
	v_fma_f64 v[225:226], v[215:216], s[20:21], v[225:226]
	v_add_f64 v[88:89], v[164:165], v[88:89]
	v_add_f64 v[28:29], v[28:29], -v[229:230]
	v_add_f64 v[158:159], v[202:203], v[16:17]
	v_add_f64 v[86:87], v[166:167], v[86:87]
	;; [unrolled: 1-line block ×3, first 2 shown]
	v_fma_f64 v[221:222], v[211:212], s[30:31], -v[233:234]
	v_fma_f64 v[211:212], v[211:212], s[30:31], v[233:234]
	v_mul_f64 v[233:234], v[194:195], s[14:15]
	v_mul_f64 v[194:195], v[194:195], s[42:43]
	v_add_f64 v[54:55], v[166:167], v[54:55]
	v_add_f64 v[162:163], v[166:167], v[162:163]
	;; [unrolled: 1-line block ×5, first 2 shown]
	v_mul_f64 v[190:191], v[74:75], s[24:25]
	v_mul_f64 v[74:75], v[74:75], s[2:3]
	v_add_f64 v[221:222], v[166:167], v[221:222]
	v_fma_f64 v[231:232], v[215:216], s[18:19], -v[233:234]
	v_fma_f64 v[233:234], v[215:216], s[18:19], v[233:234]
	v_fma_f64 v[239:240], v[215:216], s[30:31], v[194:195]
	v_fma_f64 v[194:195], v[215:216], s[30:31], -v[194:195]
	v_add_f64 v[216:217], v[166:167], v[217:218]
	v_add_f64 v[166:167], v[166:167], v[211:212]
	;; [unrolled: 1-line block ×6, first 2 shown]
	v_mul_f64 v[194:195], v[178:179], s[22:23]
	v_add_f64 v[26:27], v[26:27], -v[194:195]
	v_fma_f64 v[194:195], v[82:83], s[30:31], v[90:91]
	v_fma_f64 v[90:91], v[82:83], s[30:31], -v[90:91]
	v_add_f64 v[26:27], v[26:27], v[84:85]
	v_add_f64 v[62:63], v[194:195], v[62:63]
	v_fma_f64 v[194:195], v[156:157], s[30:31], -v[186:187]
	v_add_f64 v[54:55], v[90:91], v[54:55]
	v_fma_f64 v[90:91], v[156:157], s[30:31], v[186:187]
	v_mul_f64 v[186:187], v[178:179], s[24:25]
	v_add_f64 v[84:85], v[158:159], v[188:189]
	v_add_f64 v[26:27], v[28:29], v[26:27]
	;; [unrolled: 1-line block ×4, first 2 shown]
	v_fma_f64 v[202:203], v[82:83], s[26:27], v[186:187]
	v_fma_f64 v[186:187], v[82:83], s[26:27], -v[186:187]
	v_add_f64 v[84:85], v[84:85], v[66:67]
	v_add_f64 v[202:203], v[202:203], v[216:217]
	;; [unrolled: 1-line block ×4, first 2 shown]
	v_fma_f64 v[192:193], v[156:157], s[26:27], -v[190:191]
	v_fma_f64 v[190:191], v[156:157], s[26:27], v[190:191]
	v_add_f64 v[28:29], v[84:85], v[20:21]
	v_add_f64 v[186:187], v[186:187], v[198:199]
	;; [unrolled: 1-line block ×3, first 2 shown]
	v_mul_f64 v[192:193], v[204:205], s[34:35]
	v_add_f64 v[190:191], v[190:191], v[225:226]
	v_add_f64 v[28:29], v[28:29], v[247:248]
	;; [unrolled: 1-line block ×3, first 2 shown]
	v_mul_f64 v[184:185], v[219:220], s[12:13]
	v_fma_f64 v[200:201], v[80:81], s[20:21], v[192:193]
	v_fma_f64 v[192:193], v[80:81], s[20:21], -v[192:193]
	v_add_f64 v[28:29], v[28:29], v[10:11]
	v_add_f64 v[10:11], v[176:177], -v[58:59]
	v_add_f64 v[158:159], v[158:159], v[22:23]
	v_fma_f64 v[186:187], v[172:173], s[4:5], v[184:185]
	v_add_f64 v[62:63], v[200:201], v[62:63]
	v_mul_f64 v[200:201], v[72:73], s[34:35]
	v_add_f64 v[54:55], v[192:193], v[54:55]
	v_fma_f64 v[184:185], v[172:173], s[4:5], -v[184:185]
	v_add_f64 v[28:29], v[28:29], v[14:15]
	v_add_f64 v[84:85], v[158:159], v[18:19]
	v_mul_f64 v[158:159], v[178:179], s[14:15]
	v_fma_f64 v[192:193], v[78:79], s[20:21], v[200:201]
	v_fma_f64 v[211:212], v[78:79], s[20:21], -v[200:201]
	v_add_f64 v[84:85], v[84:85], v[249:250]
	v_add_f64 v[158:159], v[206:207], -v[158:159]
	v_add_f64 v[90:91], v[192:193], v[90:91]
	v_mul_f64 v[192:193], v[204:205], s[2:3]
	v_add_f64 v[194:195], v[211:212], v[194:195]
	v_add_f64 v[84:85], v[84:85], v[64:65]
	;; [unrolled: 1-line block ×3, first 2 shown]
	v_mul_f64 v[158:159], v[178:179], s[2:3]
	v_fma_f64 v[200:201], v[80:81], s[16:17], v[192:193]
	v_fma_f64 v[192:193], v[80:81], s[16:17], -v[192:193]
	v_add_f64 v[64:65], v[84:85], v[160:161]
	v_fma_f64 v[84:85], v[48:49], s[30:31], -v[180:181]
	v_add_f64 v[200:201], v[200:201], v[202:203]
	v_add_f64 v[162:163], v[192:193], v[162:163]
	v_mul_f64 v[192:193], v[72:73], s[2:3]
	v_mul_f64 v[72:73], v[72:73], s[28:29]
	v_fma_f64 v[198:199], v[78:79], s[16:17], -v[192:193]
	v_fma_f64 v[192:193], v[78:79], s[16:17], v[192:193]
	v_add_f64 v[52:53], v[198:199], v[52:53]
	v_mul_f64 v[198:199], v[174:175], s[36:37]
	v_add_f64 v[190:191], v[192:193], v[190:191]
	v_fma_f64 v[202:203], v[76:77], s[16:17], v[198:199]
	v_fma_f64 v[198:199], v[76:77], s[16:17], -v[198:199]
	v_add_f64 v[62:63], v[202:203], v[62:63]
	v_add_f64 v[54:55], v[198:199], v[54:55]
	v_mul_f64 v[202:203], v[70:71], s[36:37]
	v_add_f64 v[62:63], v[186:187], v[62:63]
	v_mul_f64 v[186:187], v[50:51], s[12:13]
	v_add_f64 v[54:55], v[184:185], v[54:55]
	v_fma_f64 v[211:212], v[68:69], s[16:17], -v[202:203]
	v_fma_f64 v[198:199], v[68:69], s[16:17], v[202:203]
	v_mul_f64 v[50:51], v[50:51], s[34:35]
	v_fma_f64 v[188:189], v[48:49], s[4:5], -v[186:187]
	v_fma_f64 v[184:185], v[48:49], s[4:5], v[186:187]
	v_mul_f64 v[186:187], v[70:71], s[40:41]
	v_add_f64 v[194:195], v[211:212], v[194:195]
	v_add_f64 v[90:91], v[198:199], v[90:91]
	v_mul_f64 v[198:199], v[174:175], s[40:41]
	v_fma_f64 v[192:193], v[68:69], s[18:19], -v[186:187]
	v_fma_f64 v[186:187], v[68:69], s[18:19], v[186:187]
	v_add_f64 v[188:189], v[188:189], v[194:195]
	v_mul_f64 v[194:195], v[78:79], s[30:31]
	v_fma_f64 v[202:203], v[76:77], s[18:19], v[198:199]
	v_fma_f64 v[198:199], v[76:77], s[18:19], -v[198:199]
	v_add_f64 v[90:91], v[184:185], v[90:91]
	v_fma_f64 v[184:185], v[172:173], s[30:31], v[245:246]
	v_add_f64 v[52:53], v[192:193], v[52:53]
	v_add_f64 v[186:187], v[186:187], v[190:191]
	v_mul_f64 v[190:191], v[219:220], s[40:41]
	v_add_f64 v[18:19], v[194:195], v[235:236]
	v_mul_f64 v[194:195], v[204:205], s[38:39]
	v_add_f64 v[162:163], v[198:199], v[162:163]
	v_fma_f64 v[192:193], v[172:173], s[30:31], -v[245:246]
	v_add_f64 v[200:201], v[202:203], v[200:201]
	v_add_f64 v[52:53], v[84:85], v[52:53]
	v_add_f64 v[24:25], v[24:25], -v[190:191]
	v_mul_f64 v[190:191], v[174:175], s[28:29]
	v_add_f64 v[194:195], v[253:254], -v[194:195]
	v_add_f64 v[162:163], v[192:193], v[162:163]
	v_mul_f64 v[192:193], v[156:157], s[4:5]
	v_add_f64 v[184:185], v[184:185], v[200:201]
	v_add_f64 v[22:23], v[12:13], -v[190:191]
	s_clause 0x1
	buffer_load_dword v12, off, s[48:51], 0 offset:292
	buffer_load_dword v13, off, s[48:51], 0 offset:296
	v_mul_f64 v[190:191], v[178:179], s[12:13]
	v_fma_f64 v[178:179], v[82:83], s[16:17], -v[158:159]
	v_fma_f64 v[82:83], v[82:83], s[16:17], v[158:159]
	v_fma_f64 v[158:159], v[156:157], s[16:17], v[74:75]
	v_fma_f64 v[74:75], v[156:157], s[16:17], -v[74:75]
	v_add_f64 v[22:23], v[22:23], v[26:27]
	v_mul_f64 v[26:27], v[156:157], s[20:21]
	v_add_f64 v[190:191], v[60:61], -v[190:191]
	v_add_f64 v[178:179], v[178:179], v[221:222]
	v_add_f64 v[58:59], v[82:83], v[166:167]
	;; [unrolled: 1-line block ×6, first 2 shown]
	v_mul_f64 v[26:27], v[156:157], s[18:19]
	v_mul_f64 v[156:157], v[78:79], s[4:5]
	v_add_f64 v[86:87], v[190:191], v[86:87]
	v_mul_f64 v[190:191], v[78:79], s[18:19]
	v_mul_f64 v[24:25], v[168:169], s[30:31]
	v_add_f64 v[20:21], v[20:21], v[34:35]
	v_add_f64 v[26:27], v[26:27], v[251:252]
	;; [unrolled: 1-line block ×5, first 2 shown]
	v_mul_f64 v[30:31], v[68:69], s[26:27]
	v_mul_f64 v[20:21], v[48:49], s[18:19]
	v_add_f64 v[16:17], v[30:31], v[6:7]
	v_add_f64 v[30:31], v[194:195], v[32:33]
	v_mul_f64 v[32:33], v[204:205], s[28:29]
	v_add_f64 v[14:15], v[20:21], v[182:183]
	v_mul_f64 v[20:21], v[219:220], s[2:3]
	v_add_f64 v[16:17], v[16:17], v[18:19]
	v_add_f64 v[10:11], v[10:11], v[30:31]
	v_fma_f64 v[34:35], v[80:81], s[26:27], -v[32:33]
	v_fma_f64 v[32:33], v[80:81], s[26:27], v[32:33]
	v_fma_f64 v[80:81], v[78:79], s[26:27], v[72:73]
	v_fma_f64 v[72:73], v[78:79], s[26:27], -v[72:73]
	v_mul_f64 v[78:79], v[68:69], s[30:31]
	v_add_f64 v[6:7], v[56:57], -v[20:21]
	v_mul_f64 v[20:21], v[174:175], s[12:13]
	v_mul_f64 v[56:57], v[168:169], s[16:17]
	;; [unrolled: 1-line block ×3, first 2 shown]
	v_add_f64 v[34:35], v[34:35], v[178:179]
	v_add_f64 v[30:31], v[32:33], v[58:59]
	v_mul_f64 v[32:33], v[70:71], s[12:13]
	v_mul_f64 v[70:71], v[48:49], s[16:17]
	v_add_f64 v[66:67], v[80:81], v[158:159]
	v_fma_f64 v[58:59], v[68:69], s[4:5], v[32:33]
	v_fma_f64 v[32:33], v[68:69], s[4:5], -v[32:33]
	v_add_f64 v[58:59], v[58:59], v[66:67]
	v_mul_f64 v[66:67], v[227:228], s[34:35]
	s_waitcnt vmcnt(0)
	v_add_f64 v[192:193], v[192:193], v[12:13]
	v_add_f64 v[12:13], v[156:157], v[8:9]
	v_mul_f64 v[156:157], v[204:205], s[14:15]
	v_add_f64 v[8:9], v[78:79], v[196:197]
	v_mul_f64 v[78:79], v[174:175], s[22:23]
	v_add_f64 v[88:89], v[192:193], v[88:89]
	v_add_f64 v[12:13], v[12:13], v[26:27]
	v_add_f64 v[156:157], v[0:1], -v[156:157]
	v_add_f64 v[0:1], v[70:71], v[2:3]
	s_clause 0x1
	buffer_load_dword v2, off, s[48:51], 0 offset:404
	buffer_load_dword v3, off, s[48:51], 0 offset:408
	v_fma_f64 v[26:27], v[76:77], s[4:5], -v[20:21]
	v_fma_f64 v[20:21], v[76:77], s[4:5], v[20:21]
	v_add_f64 v[78:79], v[4:5], -v[78:79]
	v_mul_f64 v[70:71], v[219:220], s[24:25]
	v_mul_f64 v[76:77], v[219:220], s[34:35]
	v_add_f64 v[80:81], v[190:191], v[88:89]
	v_fma_f64 v[88:89], v[48:49], s[30:31], v[180:181]
	v_add_f64 v[82:83], v[156:157], v[86:87]
	v_mul_f64 v[86:87], v[68:69], s[20:21]
	v_add_f64 v[68:69], v[72:73], v[74:75]
	v_mul_f64 v[74:75], v[48:49], s[26:27]
	;; [unrolled: 2-line block ×3, first 2 shown]
	v_add_f64 v[20:21], v[20:21], v[30:31]
	v_fma_f64 v[30:31], v[48:49], s[20:21], v[50:51]
	v_fma_f64 v[48:49], v[48:49], s[20:21], -v[50:51]
	v_add_f64 v[70:71], v[208:209], -v[70:71]
	v_fma_f64 v[4:5], v[172:173], s[20:21], -v[76:77]
	v_add_f64 v[8:9], v[8:9], v[12:13]
	v_mul_f64 v[12:13], v[168:169], s[20:21]
	v_fma_f64 v[76:77], v[172:173], s[20:21], v[76:77]
	v_add_f64 v[88:89], v[88:89], v[186:187]
	v_add_f64 v[72:73], v[78:79], v[82:83]
	;; [unrolled: 1-line block ×4, first 2 shown]
	v_mul_f64 v[82:83], v[227:228], s[14:15]
	v_mul_f64 v[78:79], v[227:228], s[24:25]
	v_add_f64 v[58:59], v[30:31], v[58:59]
	v_add_f64 v[8:9], v[0:1], v[8:9]
	;; [unrolled: 1-line block ×5, first 2 shown]
	s_waitcnt vmcnt(0)
	v_add_f64 v[74:75], v[74:75], v[2:3]
	s_clause 0x1
	buffer_load_dword v2, off, s[48:51], 0 offset:188
	buffer_load_dword v3, off, s[48:51], 0 offset:192
	s_waitcnt vmcnt(0)
	v_add_f64 v[28:29], v[28:29], v[2:3]
	s_clause 0x1
	buffer_load_dword v2, off, s[48:51], 0 offset:396
	buffer_load_dword v3, off, s[48:51], 0 offset:400
	;; [unrolled: 5-line block ×3, first 2 shown]
	v_add_f64 v[64:65], v[86:87], v[80:81]
	v_mul_f64 v[80:81], v[223:224], s[12:13]
	v_mul_f64 v[86:87], v[223:224], s[14:15]
	v_add_f64 v[64:65], v[74:75], v[64:65]
	v_add_f64 v[74:75], v[14:15], v[16:17]
	v_fma_f64 v[160:161], v[168:169], s[4:5], v[80:81]
	v_fma_f64 v[80:81], v[168:169], s[4:5], -v[80:81]
	v_fma_f64 v[164:165], v[168:169], s[18:19], v[86:87]
	v_fma_f64 v[84:85], v[168:169], s[18:19], -v[86:87]
	v_add_f64 v[32:33], v[80:81], v[52:53]
	v_add_f64 v[48:49], v[84:85], v[48:49]
	s_waitcnt vmcnt(0)
	v_add_f64 v[34:35], v[2:3], -v[34:35]
	s_clause 0x3
	buffer_load_dword v2, off, s[48:51], 0 offset:308
	buffer_load_dword v3, off, s[48:51], 0 offset:312
	;; [unrolled: 1-line block ×4, first 2 shown]
	v_add_f64 v[14:15], v[34:35], v[22:23]
	s_waitcnt vmcnt(2)
	v_add_f64 v[56:57], v[56:57], v[2:3]
	v_mul_f64 v[2:3], v[227:228], s[12:13]
	s_waitcnt vmcnt(0)
	v_add_f64 v[50:51], v[50:51], -v[66:67]
	v_add_f64 v[66:67], v[6:7], v[10:11]
	s_clause 0x5
	buffer_load_dword v6, off, s[48:51], 0 offset:260
	buffer_load_dword v7, off, s[48:51], 0 offset:264
	buffer_load_dword v10, off, s[48:51], 0 offset:252
	buffer_load_dword v11, off, s[48:51], 0 offset:256
	buffer_load_dword v68, off, s[48:51], 0 offset:276
	buffer_load_dword v69, off, s[48:51], 0 offset:280
	v_fma_f64 v[72:73], v[170:171], s[4:5], v[2:3]
	v_fma_f64 v[156:157], v[170:171], s[4:5], -v[2:3]
	s_clause 0x1
	buffer_load_dword v2, off, s[48:51], 0 offset:236
	buffer_load_dword v3, off, s[48:51], 0 offset:240
	v_add_f64 v[34:35], v[72:73], v[184:185]
	s_waitcnt vmcnt(6)
	v_add_f64 v[12:13], v[12:13], v[6:7]
	s_waitcnt vmcnt(2)
	v_add_f64 v[68:69], v[68:69], -v[10:11]
	v_fma_f64 v[10:11], v[168:169], s[26:27], -v[18:19]
	v_fma_f64 v[18:19], v[168:169], s[26:27], v[18:19]
	v_fma_f64 v[6:7], v[170:171], s[26:27], v[78:79]
	v_fma_f64 v[78:79], v[170:171], s[26:27], -v[78:79]
	s_waitcnt vmcnt(0)
	v_add_f64 v[158:159], v[24:25], v[2:3]
	s_clause 0x1
	buffer_load_dword v2, off, s[48:51], 0 offset:212
	buffer_load_dword v3, off, s[48:51], 0 offset:216
	v_add_f64 v[24:25], v[4:5], v[26:27]
	v_fma_f64 v[26:27], v[170:171], s[18:19], -v[82:83]
	v_fma_f64 v[82:83], v[170:171], s[18:19], v[82:83]
	v_add_f64 v[22:23], v[68:69], v[70:71]
	v_add_f64 v[4:5], v[18:19], v[90:91]
	;; [unrolled: 1-line block ×9, first 2 shown]
	s_waitcnt vmcnt(0)
	v_add_f64 v[28:29], v[28:29], v[2:3]
	s_clause 0x3
	buffer_load_dword v2, off, s[48:51], 0 offset:228
	buffer_load_dword v3, off, s[48:51], 0 offset:232
	;; [unrolled: 1-line block ×4, first 2 shown]
	s_waitcnt vmcnt(2)
	v_add_f64 v[60:61], v[60:61], v[2:3]
	s_waitcnt vmcnt(0)
	v_add_f64 v[30:31], v[28:29], v[16:17]
	s_clause 0x3
	buffer_load_dword v16, off, s[48:51], 0 offset:204
	buffer_load_dword v17, off, s[48:51], 0 offset:208
	;; [unrolled: 1-line block ×4, first 2 shown]
	v_add_f64 v[2:3], v[6:7], v[62:63]
	v_add_f64 v[6:7], v[78:79], v[54:55]
	v_mov_b32_e32 v54, 39
	s_waitcnt vmcnt(2)
	v_add_f64 v[28:29], v[60:61], v[16:17]
	v_add_f64 v[16:17], v[12:13], v[8:9]
	v_add_f64 v[12:13], v[56:57], v[74:75]
	v_add_f64 v[8:9], v[160:161], v[88:89]
	s_waitcnt vmcnt(1)
	v_mul_u32_u24_sdwa v52, v52, v54 dst_sel:DWORD dst_unused:UNUSED_PAD src0_sel:WORD_0 src1_sel:DWORD
	s_waitcnt vmcnt(0)
	v_add_lshl_u32 v52, v52, v53, 4
	ds_write_b128 v52, v[28:31]
	ds_write_b128 v52, v[24:27] offset:48
	ds_write_b128 v52, v[20:23] offset:96
	;; [unrolled: 1-line block ×12, first 2 shown]
.LBB0_25:
	s_or_b32 exec_lo, exec_lo, s1
	s_waitcnt lgkmcnt(0)
	s_waitcnt_vscnt null, 0x0
	s_barrier
	buffer_gl0_inv
	ds_read_b128 v[56:59], v255
	ds_read_b128 v[48:51], v255 offset:1872
	ds_read_b128 v[72:75], v255 offset:13728
	;; [unrolled: 1-line block ×8, first 2 shown]
	s_and_saveexec_b32 s0, vcc_lo
	s_cbranch_execz .LBB0_27
; %bb.26:
	ds_read_b128 v[44:47], v255 offset:5616
	ds_read_b128 v[40:43], v255 offset:12480
	;; [unrolled: 1-line block ×3, first 2 shown]
.LBB0_27:
	s_or_b32 exec_lo, exec_lo, s0
	s_waitcnt lgkmcnt(4)
	v_mul_f64 v[0:1], v[150:151], v[82:83]
	v_mul_f64 v[2:3], v[142:143], v[74:75]
	;; [unrolled: 1-line block ×4, first 2 shown]
	s_waitcnt lgkmcnt(2)
	v_mul_f64 v[8:9], v[146:147], v[78:79]
	v_mul_f64 v[10:11], v[154:155], v[62:63]
	;; [unrolled: 1-line block ×4, first 2 shown]
	s_waitcnt lgkmcnt(1)
	v_mul_f64 v[16:17], v[138:139], v[66:67]
	s_waitcnt lgkmcnt(0)
	v_mul_f64 v[18:19], v[134:135], v[70:71]
	v_mul_f64 v[20:21], v[138:139], v[64:65]
	;; [unrolled: 1-line block ×3, first 2 shown]
	s_mov_b32 s0, 0xe8584caa
	s_mov_b32 s1, 0xbfebb67a
	;; [unrolled: 1-line block ×4, first 2 shown]
	s_barrier
	buffer_gl0_inv
	v_fma_f64 v[0:1], v[148:149], v[80:81], v[0:1]
	v_fma_f64 v[2:3], v[140:141], v[72:73], v[2:3]
	v_fma_f64 v[4:5], v[148:149], v[82:83], -v[4:5]
	v_fma_f64 v[6:7], v[140:141], v[74:75], -v[6:7]
	v_fma_f64 v[8:9], v[144:145], v[76:77], v[8:9]
	v_fma_f64 v[10:11], v[152:153], v[60:61], v[10:11]
	v_fma_f64 v[12:13], v[144:145], v[78:79], -v[12:13]
	v_fma_f64 v[14:15], v[152:153], v[62:63], -v[14:15]
	;; [unrolled: 4-line block ×3, first 2 shown]
	v_add_f64 v[60:61], v[56:57], v[0:1]
	v_add_f64 v[24:25], v[0:1], v[2:3]
	;; [unrolled: 1-line block ×3, first 2 shown]
	v_add_f64 v[62:63], v[4:5], -v[6:7]
	v_add_f64 v[28:29], v[8:9], v[10:11]
	v_add_f64 v[4:5], v[58:59], v[4:5]
	;; [unrolled: 1-line block ×9, first 2 shown]
	v_fma_f64 v[24:25], v[24:25], -0.5, v[56:57]
	v_add_f64 v[56:57], v[0:1], -v[2:3]
	v_fma_f64 v[26:27], v[26:27], -0.5, v[58:59]
	v_add_f64 v[58:59], v[12:13], -v[14:15]
	;; [unrolled: 2-line block ×5, first 2 shown]
	v_add_f64 v[0:1], v[60:61], v[2:3]
	v_add_f64 v[2:3], v[4:5], v[6:7]
	v_add_f64 v[4:5], v[64:65], v[10:11]
	v_add_f64 v[6:7], v[66:67], v[14:15]
	v_add_f64 v[8:9], v[68:69], v[18:19]
	v_add_f64 v[10:11], v[70:71], v[22:23]
	v_fma_f64 v[34:35], v[34:35], -0.5, v[54:55]
	v_fma_f64 v[12:13], v[62:63], s[0:1], v[24:25]
	v_fma_f64 v[16:17], v[62:63], s[2:3], v[24:25]
	;; [unrolled: 1-line block ×8, first 2 shown]
	buffer_load_dword v48, off, s[48:51], 0 offset:352 ; 4-byte Folded Reload
	v_fma_f64 v[28:29], v[50:51], s[0:1], v[32:33]
	v_fma_f64 v[32:33], v[50:51], s[2:3], v[32:33]
	s_waitcnt vmcnt(0)
	ds_write_b128 v48, v[0:3]
	ds_write_b128 v48, v[12:15] offset:624
	ds_write_b128 v48, v[16:19] offset:1248
	buffer_load_dword v0, off, s[48:51], 0 offset:348 ; 4-byte Folded Reload
	v_fma_f64 v[30:31], v[52:53], s[2:3], v[34:35]
	v_fma_f64 v[34:35], v[52:53], s[0:1], v[34:35]
	s_waitcnt vmcnt(0)
	ds_write_b128 v0, v[4:7]
	ds_write_b128 v0, v[20:23] offset:624
	ds_write_b128 v0, v[24:27] offset:1248
	buffer_load_dword v0, off, s[48:51], 0 offset:344 ; 4-byte Folded Reload
	s_waitcnt vmcnt(0)
	ds_write_b128 v0, v[8:11]
	ds_write_b128 v0, v[28:31] offset:624
	ds_write_b128 v0, v[32:35] offset:1248
	s_and_saveexec_b32 s4, vcc_lo
	s_cbranch_execz .LBB0_29
; %bb.28:
	s_clause 0x7
	buffer_load_dword v12, off, s[48:51], 0 offset:380
	buffer_load_dword v13, off, s[48:51], 0 offset:384
	;; [unrolled: 1-line block ×8, first 2 shown]
	s_waitcnt vmcnt(4)
	v_mul_f64 v[0:1], v[14:15], v[40:41]
	s_waitcnt vmcnt(0)
	v_mul_f64 v[2:3], v[10:11], v[36:37]
	v_mul_f64 v[4:5], v[14:15], v[42:43]
	;; [unrolled: 1-line block ×3, first 2 shown]
	v_fma_f64 v[0:1], v[12:13], v[42:43], -v[0:1]
	v_fma_f64 v[2:3], v[8:9], v[38:39], -v[2:3]
	v_fma_f64 v[4:5], v[12:13], v[40:41], v[4:5]
	v_fma_f64 v[6:7], v[8:9], v[36:37], v[6:7]
	v_add_f64 v[14:15], v[46:47], v[0:1]
	v_add_f64 v[8:9], v[0:1], v[2:3]
	v_add_f64 v[16:17], v[0:1], -v[2:3]
	v_add_f64 v[10:11], v[4:5], v[6:7]
	v_add_f64 v[12:13], v[4:5], -v[6:7]
	v_add_f64 v[4:5], v[44:45], v[4:5]
	v_add_f64 v[2:3], v[14:15], v[2:3]
	v_fma_f64 v[8:9], v[8:9], -0.5, v[46:47]
	v_fma_f64 v[18:19], v[10:11], -0.5, v[44:45]
	v_add_f64 v[0:1], v[4:5], v[6:7]
	v_fma_f64 v[6:7], v[12:13], s[0:1], v[8:9]
	v_fma_f64 v[10:11], v[12:13], s[2:3], v[8:9]
	buffer_load_dword v13, off, s[48:51], 0 offset:340 ; 4-byte Folded Reload
	v_fma_f64 v[8:9], v[16:17], s[0:1], v[18:19]
	v_fma_f64 v[4:5], v[16:17], s[2:3], v[18:19]
	v_mov_b32_e32 v12, 4
	s_waitcnt vmcnt(0)
	v_lshlrev_b32_sdwa v12, v12, v13 dst_sel:DWORD dst_unused:UNUSED_PAD src0_sel:DWORD src1_sel:WORD_0
	ds_write_b128 v12, v[0:3]
	ds_write_b128 v12, v[8:11] offset:624
	ds_write_b128 v12, v[4:7] offset:1248
.LBB0_29:
	s_or_b32 exec_lo, exec_lo, s4
	s_waitcnt lgkmcnt(0)
	s_barrier
	buffer_gl0_inv
	ds_read_b128 v[0:3], v255 offset:1872
	ds_read_b128 v[36:39], v255
	ds_read_b128 v[4:7], v255 offset:3744
	ds_read_b128 v[8:11], v255 offset:5616
	ds_read_b128 v[12:15], v255 offset:7488
	ds_read_b128 v[16:19], v255 offset:9360
	ds_read_b128 v[20:23], v255 offset:11232
	ds_read_b128 v[24:27], v255 offset:13104
	ds_read_b128 v[28:31], v255 offset:14976
	ds_read_b128 v[32:35], v255 offset:16848
	ds_read_b128 v[40:43], v255 offset:18720
	s_mov_b32 s2, 0xf8bb580b
	s_mov_b32 s4, 0x8764f0ba
	;; [unrolled: 1-line block ×9, first 2 shown]
	s_waitcnt lgkmcnt(10)
	v_mul_f64 v[44:45], v[94:95], v[2:3]
	v_mul_f64 v[46:47], v[94:95], v[0:1]
	s_waitcnt lgkmcnt(8)
	v_mul_f64 v[50:51], v[130:131], v[6:7]
	v_mul_f64 v[52:53], v[130:131], v[4:5]
	;; [unrolled: 3-line block ×6, first 2 shown]
	v_mul_f64 v[54:55], v[126:127], v[34:35]
	v_mul_f64 v[76:77], v[98:99], v[20:21]
	;; [unrolled: 1-line block ×5, first 2 shown]
	s_mov_b32 s20, 0x640f44db
	s_mov_b32 s19, 0xbfefac9e
	;; [unrolled: 1-line block ×5, first 2 shown]
	v_fma_f64 v[44:45], v[92:93], v[0:1], v[44:45]
	v_fma_f64 v[46:47], v[92:93], v[2:3], -v[46:47]
	v_mul_f64 v[2:3], v[114:115], v[42:43]
	v_fma_f64 v[4:5], v[128:129], v[4:5], v[50:51]
	v_fma_f64 v[6:7], v[128:129], v[6:7], -v[52:53]
	v_mul_f64 v[52:53], v[102:103], v[16:17]
	v_fma_f64 v[10:11], v[120:121], v[10:11], -v[60:61]
	v_fma_f64 v[8:9], v[120:121], v[8:9], v[58:59]
	v_fma_f64 v[30:31], v[116:117], v[30:31], -v[64:65]
	v_fma_f64 v[28:29], v[116:117], v[28:29], v[62:63]
	v_fma_f64 v[0:1], v[112:113], v[42:43], -v[48:49]
	v_mul_f64 v[42:43], v[102:103], v[18:19]
	v_fma_f64 v[14:15], v[108:109], v[14:15], -v[68:69]
	v_fma_f64 v[34:35], v[124:125], v[34:35], -v[56:57]
	v_fma_f64 v[12:13], v[108:109], v[12:13], v[66:67]
	v_fma_f64 v[22:23], v[96:97], v[22:23], -v[76:77]
	v_fma_f64 v[20:21], v[96:97], v[20:21], v[74:75]
	v_fma_f64 v[32:33], v[124:125], v[32:33], v[54:55]
	;; [unrolled: 1-line block ×3, first 2 shown]
	v_fma_f64 v[26:27], v[104:105], v[26:27], -v[72:73]
	s_mov_b32 s26, 0x7f775887
	s_mov_b32 s28, 0xfd768dbf
	v_add_f64 v[48:49], v[36:37], v[44:45]
	v_add_f64 v[50:51], v[38:39], v[46:47]
	v_fma_f64 v[2:3], v[112:113], v[40:41], v[2:3]
	s_mov_b32 s34, 0x9bcd5057
	s_mov_b32 s1, 0x3fe14ced
	v_fma_f64 v[18:19], v[100:101], v[18:19], -v[52:53]
	s_mov_b32 s15, 0x3fed1bb4
	s_mov_b32 s27, 0xbfe4f49e
	v_add_f64 v[58:59], v[10:11], v[30:31]
	v_add_f64 v[62:63], v[10:11], -v[30:31]
	v_add_f64 v[56:57], v[8:9], v[28:29]
	v_fma_f64 v[16:17], v[100:101], v[16:17], v[42:43]
	v_add_f64 v[60:61], v[8:9], -v[28:29]
	v_add_f64 v[40:41], v[46:47], -v[0:1]
	v_add_f64 v[46:47], v[46:47], v[0:1]
	v_add_f64 v[54:55], v[6:7], -v[34:35]
	s_mov_b32 s29, 0xbfd207e7
	s_mov_b32 s35, 0xbfeeb42a
	;; [unrolled: 1-line block ×4, first 2 shown]
	v_add_f64 v[52:53], v[4:5], v[32:33]
	s_mov_b32 s25, 0x3fefac9e
	v_add_f64 v[42:43], v[48:49], v[4:5]
	v_add_f64 v[48:49], v[50:51], v[6:7]
	;; [unrolled: 1-line block ×3, first 2 shown]
	v_add_f64 v[44:45], v[44:45], -v[2:3]
	v_add_f64 v[6:7], v[6:7], v[34:35]
	v_add_f64 v[4:5], v[4:5], -v[32:33]
	s_mov_b32 s37, 0x3fd207e7
	s_mov_b32 s24, s18
	;; [unrolled: 1-line block ×5, first 2 shown]
	v_add_f64 v[66:67], v[14:15], v[26:27]
	v_add_f64 v[68:69], v[14:15], -v[26:27]
	v_mul_f64 v[70:71], v[40:41], s[2:3]
	v_mul_f64 v[72:73], v[46:47], s[4:5]
	;; [unrolled: 1-line block ×9, first 2 shown]
	v_add_f64 v[8:9], v[42:43], v[8:9]
	v_add_f64 v[10:11], v[48:49], v[10:11]
	v_mul_f64 v[42:43], v[40:41], s[18:19]
	v_mul_f64 v[48:49], v[46:47], s[20:21]
	;; [unrolled: 1-line block ×11, first 2 shown]
	v_fma_f64 v[112:113], v[50:51], s[4:5], v[70:71]
	v_fma_f64 v[114:115], v[44:45], s[0:1], v[72:73]
	v_fma_f64 v[70:71], v[50:51], s[4:5], -v[70:71]
	v_fma_f64 v[72:73], v[44:45], s[2:3], v[72:73]
	v_fma_f64 v[116:117], v[50:51], s[16:17], v[74:75]
	;; [unrolled: 1-line block ×5, first 2 shown]
	v_mul_f64 v[98:99], v[62:63], s[18:19]
	v_add_f64 v[8:9], v[8:9], v[12:13]
	v_add_f64 v[10:11], v[10:11], v[14:15]
	v_fma_f64 v[120:121], v[50:51], s[20:21], v[42:43]
	v_fma_f64 v[122:123], v[44:45], s[24:25], v[48:49]
	v_fma_f64 v[42:43], v[50:51], s[20:21], -v[42:43]
	v_fma_f64 v[48:49], v[44:45], s[18:19], v[48:49]
	v_mul_f64 v[100:101], v[58:59], s[20:21]
	v_mul_f64 v[104:105], v[58:59], s[34:35]
	v_fma_f64 v[74:75], v[50:51], s[16:17], -v[74:75]
	v_fma_f64 v[126:127], v[44:45], s[30:31], v[80:81]
	v_fma_f64 v[78:79], v[50:51], s[26:27], -v[78:79]
	v_fma_f64 v[80:81], v[44:45], s[22:23], v[80:81]
	v_fma_f64 v[128:129], v[50:51], s[34:35], v[40:41]
	;; [unrolled: 1-line block ×3, first 2 shown]
	v_fma_f64 v[40:41], v[50:51], s[34:35], -v[40:41]
	v_fma_f64 v[44:45], v[44:45], s[28:29], v[46:47]
	v_fma_f64 v[46:47], v[52:53], s[16:17], v[82:83]
	;; [unrolled: 1-line block ×4, first 2 shown]
	v_add_f64 v[112:113], v[36:37], v[112:113]
	v_add_f64 v[114:115], v[38:39], v[114:115]
	v_mul_f64 v[14:15], v[62:63], s[14:15]
	v_add_f64 v[8:9], v[8:9], v[16:17]
	v_add_f64 v[10:11], v[10:11], v[18:19]
	v_mul_f64 v[106:107], v[58:59], s[16:17]
	v_fma_f64 v[136:137], v[52:53], s[34:35], v[90:91]
	v_fma_f64 v[138:139], v[4:5], s[28:29], v[92:93]
	v_fma_f64 v[90:91], v[52:53], s[34:35], -v[90:91]
	v_fma_f64 v[92:93], v[4:5], s[36:37], v[92:93]
	v_add_f64 v[42:43], v[36:37], v[42:43]
	v_add_f64 v[48:49], v[38:39], v[48:49]
	v_mul_f64 v[108:109], v[62:63], s[2:3]
	v_fma_f64 v[82:83], v[52:53], s[16:17], -v[82:83]
	v_fma_f64 v[84:85], v[4:5], s[12:13], v[84:85]
	v_fma_f64 v[88:89], v[4:5], s[22:23], v[88:89]
	;; [unrolled: 1-line block ×3, first 2 shown]
	v_add_f64 v[76:77], v[38:39], v[76:77]
	v_mul_f64 v[102:103], v[62:63], s[36:37]
	v_mul_f64 v[110:111], v[58:59], s[4:5]
	v_fma_f64 v[132:133], v[52:53], s[26:27], v[86:87]
	v_fma_f64 v[86:87], v[52:53], s[26:27], -v[86:87]
	v_fma_f64 v[142:143], v[4:5], s[18:19], v[96:97]
	v_fma_f64 v[94:95], v[52:53], s[20:21], -v[94:95]
	v_fma_f64 v[96:97], v[4:5], s[24:25], v[96:97]
	v_add_f64 v[8:9], v[8:9], v[20:21]
	v_add_f64 v[10:11], v[10:11], v[22:23]
	v_fma_f64 v[144:145], v[52:53], s[4:5], v[54:55]
	v_fma_f64 v[146:147], v[4:5], s[2:3], v[6:7]
	v_fma_f64 v[52:53], v[52:53], s[4:5], -v[54:55]
	v_fma_f64 v[4:5], v[4:5], s[0:1], v[6:7]
	v_fma_f64 v[6:7], v[56:57], s[20:21], v[98:99]
	;; [unrolled: 1-line block ×4, first 2 shown]
	v_add_f64 v[74:75], v[36:37], v[74:75]
	v_add_f64 v[78:79], v[36:37], v[78:79]
	;; [unrolled: 1-line block ×3, first 2 shown]
	v_mul_f64 v[62:63], v[62:63], s[22:23]
	v_fma_f64 v[152:153], v[56:57], s[16:17], v[14:15]
	v_fma_f64 v[154:155], v[60:61], s[12:13], v[106:107]
	v_fma_f64 v[14:15], v[56:57], s[16:17], -v[14:15]
	v_fma_f64 v[106:107], v[60:61], s[14:15], v[106:107]
	v_add_f64 v[42:43], v[90:91], v[42:43]
	v_add_f64 v[48:49], v[92:93], v[48:49]
	;; [unrolled: 1-line block ×3, first 2 shown]
	v_mul_f64 v[58:59], v[58:59], s[26:27]
	v_fma_f64 v[98:99], v[56:57], s[20:21], -v[98:99]
	v_add_f64 v[8:9], v[8:9], v[24:25]
	v_add_f64 v[10:11], v[10:11], v[26:27]
	;; [unrolled: 1-line block ×16, first 2 shown]
	v_add_f64 v[12:13], v[12:13], -v[24:25]
	v_mul_f64 v[24:25], v[68:69], s[22:23]
	v_fma_f64 v[100:101], v[60:61], s[18:19], v[100:101]
	v_fma_f64 v[148:149], v[56:57], s[34:35], v[102:103]
	v_fma_f64 v[102:103], v[56:57], s[34:35], -v[102:103]
	v_add_f64 v[50:51], v[86:87], v[74:75]
	v_add_f64 v[8:9], v[8:9], v[28:29]
	;; [unrolled: 1-line block ×8, first 2 shown]
	v_fma_f64 v[104:105], v[60:61], s[36:37], v[104:105]
	v_add_f64 v[76:77], v[140:141], v[122:123]
	v_add_f64 v[82:83], v[142:143], v[124:125]
	;; [unrolled: 1-line block ×8, first 2 shown]
	v_fma_f64 v[40:41], v[60:61], s[0:1], v[110:111]
	v_mul_f64 v[52:53], v[66:67], s[20:21]
	v_fma_f64 v[54:55], v[56:57], s[4:5], -v[108:109]
	v_fma_f64 v[88:89], v[60:61], s[2:3], v[110:111]
	v_add_f64 v[14:15], v[14:15], v[42:43]
	v_add_f64 v[42:43], v[106:107], v[48:49]
	;; [unrolled: 1-line block ×4, first 2 shown]
	v_fma_f64 v[34:35], v[56:57], s[4:5], v[108:109]
	v_mul_f64 v[32:33], v[66:67], s[26:27]
	v_fma_f64 v[48:49], v[56:57], s[26:27], -v[62:63]
	v_add_f64 v[44:45], v[150:151], v[46:47]
	v_mul_f64 v[46:47], v[68:69], s[24:25]
	v_add_f64 v[72:73], v[136:137], v[118:119]
	v_fma_f64 v[90:91], v[56:57], s[26:27], v[62:63]
	v_mul_f64 v[62:63], v[68:69], s[2:3]
	v_add_f64 v[74:75], v[138:139], v[120:121]
	v_add_f64 v[26:27], v[98:99], v[26:27]
	v_fma_f64 v[92:93], v[60:61], s[30:31], v[58:59]
	v_fma_f64 v[56:57], v[60:61], s[22:23], v[58:59]
	;; [unrolled: 1-line block ×3, first 2 shown]
	v_fma_f64 v[24:25], v[64:65], s[26:27], -v[24:25]
	v_add_f64 v[28:29], v[100:101], v[28:29]
	v_add_f64 v[30:31], v[148:149], v[30:31]
	;; [unrolled: 1-line block ×4, first 2 shown]
	v_fma_f64 v[94:95], v[12:13], s[18:19], v[52:53]
	v_add_f64 v[70:71], v[104:105], v[70:71]
	v_add_f64 v[54:55], v[54:55], v[78:79]
	v_fma_f64 v[52:53], v[12:13], s[24:25], v[52:53]
	v_add_f64 v[34:35], v[34:35], v[76:77]
	v_mul_f64 v[76:77], v[66:67], s[4:5]
	v_fma_f64 v[60:61], v[12:13], s[30:31], v[32:33]
	v_fma_f64 v[32:33], v[12:13], s[22:23], v[32:33]
	;; [unrolled: 1-line block ×3, first 2 shown]
	v_fma_f64 v[46:47], v[64:65], s[20:21], -v[46:47]
	v_add_f64 v[78:79], v[88:89], v[80:81]
	v_mul_f64 v[80:81], v[68:69], s[28:29]
	v_mul_f64 v[88:89], v[66:67], s[34:35]
	;; [unrolled: 1-line block ×4, first 2 shown]
	v_add_f64 v[36:37], v[48:49], v[36:37]
	v_add_f64 v[48:49], v[18:19], -v[22:23]
	v_add_f64 v[18:19], v[18:19], v[22:23]
	v_add_f64 v[84:85], v[144:145], v[126:127]
	;; [unrolled: 1-line block ×3, first 2 shown]
	v_fma_f64 v[22:23], v[64:65], s[4:5], v[62:63]
	v_add_f64 v[86:87], v[146:147], v[128:129]
	v_add_f64 v[74:75], v[154:155], v[74:75]
	;; [unrolled: 1-line block ×6, first 2 shown]
	v_fma_f64 v[26:27], v[12:13], s[0:1], v[76:77]
	v_add_f64 v[38:39], v[60:61], v[38:39]
	v_add_f64 v[56:57], v[32:33], v[28:29]
	v_fma_f64 v[32:33], v[64:65], s[4:5], -v[62:63]
	v_add_f64 v[28:29], v[82:83], v[30:31]
	v_add_f64 v[30:31], v[94:95], v[44:45]
	;; [unrolled: 1-line block ×3, first 2 shown]
	v_fma_f64 v[50:51], v[12:13], s[2:3], v[76:77]
	v_add_f64 v[46:47], v[52:53], v[70:71]
	v_fma_f64 v[52:53], v[64:65], s[34:35], v[80:81]
	v_fma_f64 v[58:59], v[12:13], s[36:37], v[88:89]
	v_fma_f64 v[60:61], v[64:65], s[34:35], -v[80:81]
	v_fma_f64 v[62:63], v[12:13], s[28:29], v[88:89]
	v_fma_f64 v[70:71], v[64:65], s[16:17], v[68:69]
	;; [unrolled: 1-line block ×3, first 2 shown]
	v_fma_f64 v[64:65], v[64:65], s[16:17], -v[68:69]
	v_fma_f64 v[12:13], v[12:13], s[14:15], v[66:67]
	v_add_f64 v[66:67], v[16:17], v[20:21]
	v_add_f64 v[16:17], v[16:17], -v[20:21]
	v_mul_f64 v[20:21], v[48:49], s[28:29]
	v_mul_f64 v[68:69], v[18:19], s[34:35]
	v_add_f64 v[84:85], v[90:91], v[84:85]
	v_add_f64 v[22:23], v[22:23], v[72:73]
	v_mul_f64 v[72:73], v[48:49], s[0:1]
	v_mul_f64 v[80:81], v[18:19], s[4:5]
	v_add_f64 v[86:87], v[92:93], v[86:87]
	v_add_f64 v[26:27], v[26:27], v[74:75]
	v_mul_f64 v[74:75], v[48:49], s[22:23]
	v_mul_f64 v[82:83], v[18:19], s[26:27]
	v_add_f64 v[32:33], v[32:33], v[14:15]
	v_mul_f64 v[14:15], v[48:49], s[14:15]
	v_mul_f64 v[88:89], v[18:19], s[16:17]
	;; [unrolled: 3-line block ×3, first 2 shown]
	v_add_f64 v[34:35], v[52:53], v[34:35]
	v_add_f64 v[48:49], v[60:61], v[54:55]
	v_add_f64 v[52:53], v[62:63], v[78:79]
	v_add_f64 v[36:37], v[64:65], v[36:37]
	v_add_f64 v[40:41], v[58:59], v[40:41]
	v_add_f64 v[12:13], v[12:13], v[4:5]
	v_fma_f64 v[60:61], v[66:67], s[34:35], v[20:21]
	v_fma_f64 v[62:63], v[16:17], s[36:37], v[68:69]
	v_add_f64 v[54:55], v[70:71], v[84:85]
	v_fma_f64 v[20:21], v[66:67], s[34:35], -v[20:21]
	v_fma_f64 v[64:65], v[66:67], s[4:5], v[72:73]
	v_fma_f64 v[70:71], v[16:17], s[2:3], v[80:81]
	v_add_f64 v[58:59], v[76:77], v[86:87]
	v_fma_f64 v[72:73], v[66:67], s[4:5], -v[72:73]
	v_fma_f64 v[76:77], v[66:67], s[26:27], v[74:75]
	v_fma_f64 v[78:79], v[16:17], s[30:31], v[82:83]
	v_fma_f64 v[74:75], v[66:67], s[26:27], -v[74:75]
	v_fma_f64 v[84:85], v[66:67], s[16:17], v[14:15]
	v_fma_f64 v[86:87], v[16:17], s[12:13], v[88:89]
	;; [unrolled: 3-line block ×4, first 2 shown]
	v_fma_f64 v[82:83], v[16:17], s[22:23], v[82:83]
	v_fma_f64 v[80:81], v[16:17], s[0:1], v[80:81]
	;; [unrolled: 1-line block ×3, first 2 shown]
	v_add_f64 v[4:5], v[10:11], v[0:1]
	v_add_f64 v[6:7], v[60:61], v[6:7]
	;; [unrolled: 1-line block ×6, first 2 shown]
	s_mov_b32 s2, 0x768d3a48
	v_add_f64 v[18:19], v[72:73], v[44:45]
	v_add_f64 v[22:23], v[76:77], v[22:23]
	;; [unrolled: 1-line block ×15, first 2 shown]
	ds_write_b128 v255, v[2:5]
	ds_write_b128 v255, v[6:9] offset:1872
	ds_write_b128 v255, v[14:17] offset:3744
	;; [unrolled: 1-line block ×10, first 2 shown]
	s_waitcnt lgkmcnt(0)
	s_barrier
	buffer_gl0_inv
	ds_read_b128 v[0:3], v255
	ds_read_b128 v[4:7], v255 offset:1872
	s_clause 0x3
	buffer_load_dword v18, off, s[48:51], 0 offset:36
	buffer_load_dword v19, off, s[48:51], 0 offset:40
	;; [unrolled: 1-line block ×4, first 2 shown]
	ds_read_b128 v[8:11], v255 offset:6864
	s_clause 0x2
	buffer_load_dword v16, off, s[48:51], 0 offset:12
	buffer_load_dword v17, off, s[48:51], 0 offset:16
	buffer_load_dword v30, off, s[48:51], 0
	s_mov_b32 s3, 0x3f4975f4
	s_mul_hi_u32 s1, s8, 0x1ad
	s_waitcnt vmcnt(3) lgkmcnt(2)
	v_mul_f64 v[12:13], v[20:21], v[2:3]
	v_mul_f64 v[14:15], v[20:21], v[0:1]
	s_waitcnt vmcnt(2)
	v_mov_b32_e32 v28, v16
	s_waitcnt vmcnt(0)
	v_mad_u64_u32 v[22:23], null, s8, v30, 0
	v_mad_u64_u32 v[20:21], null, s10, v28, 0
	v_mad_u64_u32 v[28:29], null, s11, v28, v[21:22]
	v_fma_f64 v[16:17], v[18:19], v[0:1], v[12:13]
	v_fma_f64 v[18:19], v[18:19], v[2:3], -v[14:15]
	ds_read_b128 v[0:3], v255 offset:3744
	s_clause 0x3
	buffer_load_dword v34, off, s[48:51], 0 offset:148
	buffer_load_dword v35, off, s[48:51], 0 offset:152
	;; [unrolled: 1-line block ×4, first 2 shown]
	v_mov_b32_e32 v21, v28
	ds_read_b128 v[12:15], v255 offset:13728
	v_mul_f64 v[16:17], v[16:17], s[2:3]
	v_mul_f64 v[18:19], v[18:19], s[2:3]
	s_waitcnt vmcnt(0) lgkmcnt(2)
	v_mul_f64 v[24:25], v[36:37], v[10:11]
	v_mul_f64 v[26:27], v[36:37], v[8:9]
	v_mad_u64_u32 v[29:30], null, s9, v30, v[23:24]
	v_fma_f64 v[30:31], v[34:35], v[8:9], v[24:25]
	v_fma_f64 v[34:35], v[34:35], v[10:11], -v[26:27]
	v_mov_b32_e32 v23, v29
	v_lshlrev_b64 v[28:29], 4, v[20:21]
	v_lshlrev_b64 v[24:25], 4, v[22:23]
	ds_read_b128 v[20:23], v255 offset:15600
	s_clause 0x3
	buffer_load_dword v42, off, s[48:51], 0 offset:100
	buffer_load_dword v43, off, s[48:51], 0 offset:104
	;; [unrolled: 1-line block ×4, first 2 shown]
	v_add_co_u32 v26, s0, s6, v28
	v_add_co_ci_u32_e64 v27, s0, s7, v29, s0
	s_clause 0x3
	buffer_load_dword v58, off, s[48:51], 0 offset:20
	buffer_load_dword v59, off, s[48:51], 0 offset:24
	;; [unrolled: 1-line block ×4, first 2 shown]
	v_add_co_u32 v40, s0, v26, v24
	v_add_co_ci_u32_e64 v41, s0, v27, v25, s0
	ds_read_b128 v[8:11], v255 offset:8736
	ds_read_b128 v[24:27], v255 offset:10608
	v_mul_f64 v[28:29], v[30:31], s[2:3]
	global_store_dwordx4 v[40:41], v[16:19], off
	ds_read_b128 v[16:19], v255 offset:17472
	s_clause 0x3
	buffer_load_dword v64, off, s[48:51], 0 offset:68
	buffer_load_dword v65, off, s[48:51], 0 offset:72
	;; [unrolled: 1-line block ×4, first 2 shown]
	v_mul_f64 v[30:31], v[34:35], s[2:3]
	s_mul_i32 s0, s9, 0x1ad
	s_add_i32 s1, s1, s0
	s_mul_i32 s0, s8, 0x1ad
	s_lshl_b64 s[4:5], s[0:1], 4
	s_mul_i32 s1, s9, 0xfffffd1b
	v_add_co_u32 v40, s0, v40, s4
	v_add_co_ci_u32_e64 v41, s0, s5, v41, s0
	s_waitcnt vmcnt(8) lgkmcnt(4)
	v_mul_f64 v[32:33], v[44:45], v[14:15]
	v_mul_f64 v[36:37], v[44:45], v[12:13]
	s_waitcnt vmcnt(4)
	v_mul_f64 v[38:39], v[60:61], v[6:7]
	s_waitcnt vmcnt(0) lgkmcnt(2)
	v_mul_f64 v[34:35], v[66:67], v[10:11]
	v_fma_f64 v[12:13], v[42:43], v[12:13], v[32:33]
	v_mul_f64 v[32:33], v[60:61], v[4:5]
	v_fma_f64 v[14:15], v[42:43], v[14:15], -v[36:37]
	v_mul_f64 v[36:37], v[66:67], v[8:9]
	s_clause 0x7
	buffer_load_dword v60, off, s[48:51], 0 offset:52
	buffer_load_dword v61, off, s[48:51], 0 offset:56
	buffer_load_dword v62, off, s[48:51], 0 offset:60
	buffer_load_dword v63, off, s[48:51], 0 offset:64
	buffer_load_dword v66, off, s[48:51], 0 offset:84
	buffer_load_dword v67, off, s[48:51], 0 offset:88
	buffer_load_dword v68, off, s[48:51], 0 offset:92
	buffer_load_dword v69, off, s[48:51], 0 offset:96
	v_fma_f64 v[38:39], v[58:59], v[4:5], v[38:39]
	v_mul_f64 v[4:5], v[12:13], s[2:3]
	v_fma_f64 v[12:13], v[58:59], v[6:7], -v[32:33]
	v_mul_f64 v[6:7], v[14:15], s[2:3]
	v_fma_f64 v[14:15], v[64:65], v[8:9], v[34:35]
	v_fma_f64 v[32:33], v[64:65], v[10:11], -v[36:37]
	v_add_co_u32 v58, s0, v40, s4
	v_add_co_ci_u32_e64 v59, s0, s5, v41, s0
	s_mul_hi_u32 s0, s8, 0xfffffd1b
	v_mul_f64 v[8:9], v[38:39], s[2:3]
	s_sub_i32 s0, s0, s8
	s_add_i32 s1, s0, s1
	s_mul_i32 s0, s8, 0xfffffd1b
	s_lshl_b64 s[6:7], s[0:1], 4
	v_add_co_u32 v38, s0, v58, s6
	v_add_co_ci_u32_e64 v39, s0, s7, v59, s0
	v_mul_f64 v[10:11], v[12:13], s[2:3]
	v_mul_f64 v[12:13], v[14:15], s[2:3]
	;; [unrolled: 1-line block ×3, first 2 shown]
	s_waitcnt vmcnt(4)
	v_mul_f64 v[44:45], v[62:63], v[20:21]
	s_waitcnt vmcnt(0)
	v_mul_f64 v[46:47], v[68:69], v[2:3]
	v_mul_f64 v[48:49], v[68:69], v[0:1]
	s_clause 0x3
	buffer_load_dword v68, off, s[48:51], 0 offset:116
	buffer_load_dword v69, off, s[48:51], 0 offset:120
	;; [unrolled: 1-line block ×4, first 2 shown]
	v_mul_f64 v[42:43], v[62:63], v[22:23]
	v_fma_f64 v[22:23], v[60:61], v[22:23], -v[44:45]
	v_fma_f64 v[0:1], v[66:67], v[0:1], v[46:47]
	v_fma_f64 v[2:3], v[66:67], v[2:3], -v[48:49]
	v_fma_f64 v[20:21], v[60:61], v[20:21], v[42:43]
	v_add_co_u32 v42, s0, v38, s4
	v_add_co_ci_u32_e64 v43, s0, s5, v39, s0
	s_waitcnt vmcnt(0) lgkmcnt(1)
	v_mul_f64 v[50:51], v[70:71], v[26:27]
	v_mul_f64 v[52:53], v[70:71], v[24:25]
	s_clause 0x3
	buffer_load_dword v70, off, s[48:51], 0 offset:132
	buffer_load_dword v71, off, s[48:51], 0 offset:136
	;; [unrolled: 1-line block ×4, first 2 shown]
	global_store_dwordx4 v[40:41], v[28:31], off
	global_store_dwordx4 v[58:59], v[4:7], off
	;; [unrolled: 1-line block ×3, first 2 shown]
	v_fma_f64 v[24:25], v[68:69], v[24:25], v[50:51]
	v_fma_f64 v[26:27], v[68:69], v[26:27], -v[52:53]
	v_mul_f64 v[24:25], v[24:25], s[2:3]
	v_mul_f64 v[26:27], v[26:27], s[2:3]
	s_waitcnt vmcnt(0) lgkmcnt(0)
	v_mul_f64 v[54:55], v[72:73], v[18:19]
	v_mul_f64 v[56:57], v[72:73], v[16:17]
	v_fma_f64 v[34:35], v[70:71], v[16:17], v[54:55]
	v_fma_f64 v[36:37], v[70:71], v[18:19], -v[56:57]
	v_mul_f64 v[18:19], v[22:23], s[2:3]
	v_mul_f64 v[22:23], v[2:3], s[2:3]
	v_add_co_u32 v2, s0, v42, s4
	v_mul_f64 v[16:17], v[20:21], s[2:3]
	v_mul_f64 v[20:21], v[0:1], s[2:3]
	v_add_co_ci_u32_e64 v3, s0, s5, v43, s0
	v_add_co_u32 v28, s0, v2, s6
	v_add_co_ci_u32_e64 v29, s0, s7, v3, s0
	v_add_co_u32 v4, s0, v28, s4
	;; [unrolled: 2-line block ×3, first 2 shown]
	v_mul_f64 v[32:33], v[34:35], s[2:3]
	v_mul_f64 v[34:35], v[36:37], s[2:3]
	v_add_co_ci_u32_e64 v1, s0, s5, v5, s0
	global_store_dwordx4 v[42:43], v[12:15], off
	global_store_dwordx4 v[2:3], v[16:19], off
	;; [unrolled: 1-line block ×5, first 2 shown]
	s_and_b32 exec_lo, exec_lo, vcc_lo
	s_cbranch_execz .LBB0_31
; %bb.30:
	v_add_co_u32 v2, vcc_lo, 0x1000, v210
	v_add_co_ci_u32_e32 v3, vcc_lo, 0, v213, vcc_lo
	v_add_co_u32 v10, vcc_lo, 0x4800, v210
	v_add_co_ci_u32_e32 v11, vcc_lo, 0, v213, vcc_lo
	global_load_dwordx4 v[2:5], v[2:3], off offset:1520
	s_clause 0x1
	buffer_load_dword v6, off, s[48:51], 0 offset:4
	buffer_load_dword v7, off, s[48:51], 0 offset:8
	v_add_co_u32 v0, vcc_lo, v0, s6
	v_add_co_ci_u32_e32 v1, vcc_lo, s7, v1, vcc_lo
	s_waitcnt vmcnt(0)
	s_clause 0x1
	global_load_dwordx4 v[6:9], v[6:7], off offset:192
	global_load_dwordx4 v[10:13], v[10:11], off offset:912
	ds_read_b128 v[14:17], v255 offset:5616
	ds_read_b128 v[18:21], v255 offset:12480
	;; [unrolled: 1-line block ×3, first 2 shown]
	s_waitcnt lgkmcnt(2)
	v_mul_f64 v[26:27], v[16:17], v[4:5]
	v_mul_f64 v[4:5], v[14:15], v[4:5]
	v_fma_f64 v[14:15], v[14:15], v[2:3], v[26:27]
	v_fma_f64 v[4:5], v[2:3], v[16:17], -v[4:5]
	v_mul_f64 v[2:3], v[14:15], s[2:3]
	v_mul_f64 v[4:5], v[4:5], s[2:3]
	v_add_co_u32 v14, vcc_lo, v0, s4
	v_add_co_ci_u32_e32 v15, vcc_lo, s5, v1, vcc_lo
	s_waitcnt vmcnt(1) lgkmcnt(1)
	v_mul_f64 v[28:29], v[20:21], v[8:9]
	v_mul_f64 v[8:9], v[18:19], v[8:9]
	s_waitcnt vmcnt(0) lgkmcnt(0)
	v_mul_f64 v[30:31], v[24:25], v[12:13]
	v_mul_f64 v[12:13], v[22:23], v[12:13]
	v_fma_f64 v[16:17], v[18:19], v[6:7], v[28:29]
	v_fma_f64 v[8:9], v[6:7], v[20:21], -v[8:9]
	v_fma_f64 v[18:19], v[22:23], v[10:11], v[30:31]
	v_fma_f64 v[12:13], v[10:11], v[24:25], -v[12:13]
	v_mul_f64 v[6:7], v[16:17], s[2:3]
	v_mul_f64 v[8:9], v[8:9], s[2:3]
	;; [unrolled: 1-line block ×4, first 2 shown]
	v_add_co_u32 v16, vcc_lo, v14, s4
	v_add_co_ci_u32_e32 v17, vcc_lo, s5, v15, vcc_lo
	global_store_dwordx4 v[0:1], v[2:5], off
	global_store_dwordx4 v[14:15], v[6:9], off
	global_store_dwordx4 v[16:17], v[10:13], off
.LBB0_31:
	s_endpgm
	.section	.rodata,"a",@progbits
	.p2align	6, 0x0
	.amdhsa_kernel bluestein_single_fwd_len1287_dim1_dp_op_CI_CI
		.amdhsa_group_segment_fixed_size 20592
		.amdhsa_private_segment_fixed_size 416
		.amdhsa_kernarg_size 104
		.amdhsa_user_sgpr_count 6
		.amdhsa_user_sgpr_private_segment_buffer 1
		.amdhsa_user_sgpr_dispatch_ptr 0
		.amdhsa_user_sgpr_queue_ptr 0
		.amdhsa_user_sgpr_kernarg_segment_ptr 1
		.amdhsa_user_sgpr_dispatch_id 0
		.amdhsa_user_sgpr_flat_scratch_init 0
		.amdhsa_user_sgpr_private_segment_size 0
		.amdhsa_wavefront_size32 1
		.amdhsa_uses_dynamic_stack 0
		.amdhsa_system_sgpr_private_segment_wavefront_offset 1
		.amdhsa_system_sgpr_workgroup_id_x 1
		.amdhsa_system_sgpr_workgroup_id_y 0
		.amdhsa_system_sgpr_workgroup_id_z 0
		.amdhsa_system_sgpr_workgroup_info 0
		.amdhsa_system_vgpr_workitem_id 0
		.amdhsa_next_free_vgpr 256
		.amdhsa_next_free_sgpr 52
		.amdhsa_reserve_vcc 1
		.amdhsa_reserve_flat_scratch 0
		.amdhsa_float_round_mode_32 0
		.amdhsa_float_round_mode_16_64 0
		.amdhsa_float_denorm_mode_32 3
		.amdhsa_float_denorm_mode_16_64 3
		.amdhsa_dx10_clamp 1
		.amdhsa_ieee_mode 1
		.amdhsa_fp16_overflow 0
		.amdhsa_workgroup_processor_mode 1
		.amdhsa_memory_ordered 1
		.amdhsa_forward_progress 0
		.amdhsa_shared_vgpr_count 0
		.amdhsa_exception_fp_ieee_invalid_op 0
		.amdhsa_exception_fp_denorm_src 0
		.amdhsa_exception_fp_ieee_div_zero 0
		.amdhsa_exception_fp_ieee_overflow 0
		.amdhsa_exception_fp_ieee_underflow 0
		.amdhsa_exception_fp_ieee_inexact 0
		.amdhsa_exception_int_div_zero 0
	.end_amdhsa_kernel
	.text
.Lfunc_end0:
	.size	bluestein_single_fwd_len1287_dim1_dp_op_CI_CI, .Lfunc_end0-bluestein_single_fwd_len1287_dim1_dp_op_CI_CI
                                        ; -- End function
	.section	.AMDGPU.csdata,"",@progbits
; Kernel info:
; codeLenInByte = 25688
; NumSgprs: 54
; NumVgprs: 256
; ScratchSize: 416
; MemoryBound: 0
; FloatMode: 240
; IeeeMode: 1
; LDSByteSize: 20592 bytes/workgroup (compile time only)
; SGPRBlocks: 6
; VGPRBlocks: 31
; NumSGPRsForWavesPerEU: 54
; NumVGPRsForWavesPerEU: 256
; Occupancy: 4
; WaveLimiterHint : 1
; COMPUTE_PGM_RSRC2:SCRATCH_EN: 1
; COMPUTE_PGM_RSRC2:USER_SGPR: 6
; COMPUTE_PGM_RSRC2:TRAP_HANDLER: 0
; COMPUTE_PGM_RSRC2:TGID_X_EN: 1
; COMPUTE_PGM_RSRC2:TGID_Y_EN: 0
; COMPUTE_PGM_RSRC2:TGID_Z_EN: 0
; COMPUTE_PGM_RSRC2:TIDIG_COMP_CNT: 0
	.text
	.p2alignl 6, 3214868480
	.fill 48, 4, 3214868480
	.type	__hip_cuid_d48ce7541862f815,@object ; @__hip_cuid_d48ce7541862f815
	.section	.bss,"aw",@nobits
	.globl	__hip_cuid_d48ce7541862f815
__hip_cuid_d48ce7541862f815:
	.byte	0                               ; 0x0
	.size	__hip_cuid_d48ce7541862f815, 1

	.ident	"AMD clang version 19.0.0git (https://github.com/RadeonOpenCompute/llvm-project roc-6.4.0 25133 c7fe45cf4b819c5991fe208aaa96edf142730f1d)"
	.section	".note.GNU-stack","",@progbits
	.addrsig
	.addrsig_sym __hip_cuid_d48ce7541862f815
	.amdgpu_metadata
---
amdhsa.kernels:
  - .args:
      - .actual_access:  read_only
        .address_space:  global
        .offset:         0
        .size:           8
        .value_kind:     global_buffer
      - .actual_access:  read_only
        .address_space:  global
        .offset:         8
        .size:           8
        .value_kind:     global_buffer
      - .actual_access:  read_only
        .address_space:  global
        .offset:         16
        .size:           8
        .value_kind:     global_buffer
      - .actual_access:  read_only
        .address_space:  global
        .offset:         24
        .size:           8
        .value_kind:     global_buffer
      - .actual_access:  read_only
        .address_space:  global
        .offset:         32
        .size:           8
        .value_kind:     global_buffer
      - .offset:         40
        .size:           8
        .value_kind:     by_value
      - .address_space:  global
        .offset:         48
        .size:           8
        .value_kind:     global_buffer
      - .address_space:  global
        .offset:         56
        .size:           8
        .value_kind:     global_buffer
      - .address_space:  global
        .offset:         64
        .size:           8
        .value_kind:     global_buffer
      - .address_space:  global
        .offset:         72
        .size:           8
        .value_kind:     global_buffer
      - .offset:         80
        .size:           4
        .value_kind:     by_value
      - .address_space:  global
        .offset:         88
        .size:           8
        .value_kind:     global_buffer
      - .address_space:  global
        .offset:         96
        .size:           8
        .value_kind:     global_buffer
    .group_segment_fixed_size: 20592
    .kernarg_segment_align: 8
    .kernarg_segment_size: 104
    .language:       OpenCL C
    .language_version:
      - 2
      - 0
    .max_flat_workgroup_size: 117
    .name:           bluestein_single_fwd_len1287_dim1_dp_op_CI_CI
    .private_segment_fixed_size: 416
    .sgpr_count:     54
    .sgpr_spill_count: 0
    .symbol:         bluestein_single_fwd_len1287_dim1_dp_op_CI_CI.kd
    .uniform_work_group_size: 1
    .uses_dynamic_stack: false
    .vgpr_count:     256
    .vgpr_spill_count: 125
    .wavefront_size: 32
    .workgroup_processor_mode: 1
amdhsa.target:   amdgcn-amd-amdhsa--gfx1030
amdhsa.version:
  - 1
  - 2
...

	.end_amdgpu_metadata
